;; amdgpu-corpus repo=ROCm/rocFFT kind=compiled arch=gfx906 opt=O3
	.text
	.amdgcn_target "amdgcn-amd-amdhsa--gfx906"
	.amdhsa_code_object_version 6
	.protected	fft_rtc_fwd_len480_factors_10_8_6_wgs_64_tpt_16_halfLds_dp_ip_CI_unitstride_sbrr_C2R_dirReg ; -- Begin function fft_rtc_fwd_len480_factors_10_8_6_wgs_64_tpt_16_halfLds_dp_ip_CI_unitstride_sbrr_C2R_dirReg
	.globl	fft_rtc_fwd_len480_factors_10_8_6_wgs_64_tpt_16_halfLds_dp_ip_CI_unitstride_sbrr_C2R_dirReg
	.p2align	8
	.type	fft_rtc_fwd_len480_factors_10_8_6_wgs_64_tpt_16_halfLds_dp_ip_CI_unitstride_sbrr_C2R_dirReg,@function
fft_rtc_fwd_len480_factors_10_8_6_wgs_64_tpt_16_halfLds_dp_ip_CI_unitstride_sbrr_C2R_dirReg: ; @fft_rtc_fwd_len480_factors_10_8_6_wgs_64_tpt_16_halfLds_dp_ip_CI_unitstride_sbrr_C2R_dirReg
; %bb.0:
	s_load_dwordx2 s[12:13], s[4:5], 0x50
	s_load_dwordx4 s[8:11], s[4:5], 0x0
	s_load_dwordx2 s[2:3], s[4:5], 0x18
	v_lshrrev_b32_e32 v9, 4, v0
	v_mov_b32_e32 v3, 0
	v_mov_b32_e32 v1, 0
	s_waitcnt lgkmcnt(0)
	v_cmp_lt_u64_e64 s[0:1], s[10:11], 2
	v_lshl_or_b32 v5, s6, 2, v9
	v_mov_b32_e32 v6, v3
	s_and_b64 vcc, exec, s[0:1]
	v_mov_b32_e32 v2, 0
	s_cbranch_vccnz .LBB0_8
; %bb.1:
	s_load_dwordx2 s[0:1], s[4:5], 0x10
	s_add_u32 s6, s2, 8
	s_addc_u32 s7, s3, 0
	v_mov_b32_e32 v1, 0
	v_mov_b32_e32 v2, 0
	s_waitcnt lgkmcnt(0)
	s_add_u32 s14, s0, 8
	s_addc_u32 s15, s1, 0
	s_mov_b64 s[16:17], 1
.LBB0_2:                                ; =>This Inner Loop Header: Depth=1
	s_load_dwordx2 s[18:19], s[14:15], 0x0
                                        ; implicit-def: $vgpr7_vgpr8
	s_waitcnt lgkmcnt(0)
	v_or_b32_e32 v4, s19, v6
	v_cmp_ne_u64_e32 vcc, 0, v[3:4]
	s_and_saveexec_b64 s[0:1], vcc
	s_xor_b64 s[20:21], exec, s[0:1]
	s_cbranch_execz .LBB0_4
; %bb.3:                                ;   in Loop: Header=BB0_2 Depth=1
	v_cvt_f32_u32_e32 v4, s18
	v_cvt_f32_u32_e32 v7, s19
	s_sub_u32 s0, 0, s18
	s_subb_u32 s1, 0, s19
	v_mac_f32_e32 v4, 0x4f800000, v7
	v_rcp_f32_e32 v4, v4
	v_mul_f32_e32 v4, 0x5f7ffffc, v4
	v_mul_f32_e32 v7, 0x2f800000, v4
	v_trunc_f32_e32 v7, v7
	v_mac_f32_e32 v4, 0xcf800000, v7
	v_cvt_u32_f32_e32 v7, v7
	v_cvt_u32_f32_e32 v4, v4
	v_mul_lo_u32 v8, s0, v7
	v_mul_hi_u32 v10, s0, v4
	v_mul_lo_u32 v12, s1, v4
	v_mul_lo_u32 v11, s0, v4
	v_add_u32_e32 v8, v10, v8
	v_add_u32_e32 v8, v8, v12
	v_mul_hi_u32 v10, v4, v11
	v_mul_lo_u32 v12, v4, v8
	v_mul_hi_u32 v14, v4, v8
	v_mul_hi_u32 v13, v7, v11
	v_mul_lo_u32 v11, v7, v11
	v_mul_hi_u32 v15, v7, v8
	v_add_co_u32_e32 v10, vcc, v10, v12
	v_addc_co_u32_e32 v12, vcc, 0, v14, vcc
	v_mul_lo_u32 v8, v7, v8
	v_add_co_u32_e32 v10, vcc, v10, v11
	v_addc_co_u32_e32 v10, vcc, v12, v13, vcc
	v_addc_co_u32_e32 v11, vcc, 0, v15, vcc
	v_add_co_u32_e32 v8, vcc, v10, v8
	v_addc_co_u32_e32 v10, vcc, 0, v11, vcc
	v_add_co_u32_e32 v4, vcc, v4, v8
	v_addc_co_u32_e32 v7, vcc, v7, v10, vcc
	v_mul_lo_u32 v8, s0, v7
	v_mul_hi_u32 v10, s0, v4
	v_mul_lo_u32 v11, s1, v4
	v_mul_lo_u32 v12, s0, v4
	v_add_u32_e32 v8, v10, v8
	v_add_u32_e32 v8, v8, v11
	v_mul_lo_u32 v13, v4, v8
	v_mul_hi_u32 v14, v4, v12
	v_mul_hi_u32 v15, v4, v8
	;; [unrolled: 1-line block ×3, first 2 shown]
	v_mul_lo_u32 v12, v7, v12
	v_mul_hi_u32 v10, v7, v8
	v_add_co_u32_e32 v13, vcc, v14, v13
	v_addc_co_u32_e32 v14, vcc, 0, v15, vcc
	v_mul_lo_u32 v8, v7, v8
	v_add_co_u32_e32 v12, vcc, v13, v12
	v_addc_co_u32_e32 v11, vcc, v14, v11, vcc
	v_addc_co_u32_e32 v10, vcc, 0, v10, vcc
	v_add_co_u32_e32 v8, vcc, v11, v8
	v_addc_co_u32_e32 v10, vcc, 0, v10, vcc
	v_add_co_u32_e32 v4, vcc, v4, v8
	v_addc_co_u32_e32 v10, vcc, v7, v10, vcc
	v_mad_u64_u32 v[7:8], s[0:1], v5, v10, 0
	v_mul_hi_u32 v11, v5, v4
	v_add_co_u32_e32 v12, vcc, v11, v7
	v_addc_co_u32_e32 v13, vcc, 0, v8, vcc
	v_mad_u64_u32 v[7:8], s[0:1], v6, v4, 0
	v_mad_u64_u32 v[10:11], s[0:1], v6, v10, 0
	v_add_co_u32_e32 v4, vcc, v12, v7
	v_addc_co_u32_e32 v4, vcc, v13, v8, vcc
	v_addc_co_u32_e32 v7, vcc, 0, v11, vcc
	v_add_co_u32_e32 v4, vcc, v4, v10
	v_addc_co_u32_e32 v10, vcc, 0, v7, vcc
	v_mul_lo_u32 v11, s19, v4
	v_mul_lo_u32 v12, s18, v10
	v_mad_u64_u32 v[7:8], s[0:1], s18, v4, 0
	v_add3_u32 v8, v8, v12, v11
	v_sub_u32_e32 v11, v6, v8
	v_mov_b32_e32 v12, s19
	v_sub_co_u32_e32 v7, vcc, v5, v7
	v_subb_co_u32_e64 v11, s[0:1], v11, v12, vcc
	v_subrev_co_u32_e64 v12, s[0:1], s18, v7
	v_subbrev_co_u32_e64 v11, s[0:1], 0, v11, s[0:1]
	v_cmp_le_u32_e64 s[0:1], s19, v11
	v_cndmask_b32_e64 v13, 0, -1, s[0:1]
	v_cmp_le_u32_e64 s[0:1], s18, v12
	v_cndmask_b32_e64 v12, 0, -1, s[0:1]
	v_cmp_eq_u32_e64 s[0:1], s19, v11
	v_cndmask_b32_e64 v11, v13, v12, s[0:1]
	v_add_co_u32_e64 v12, s[0:1], 2, v4
	v_addc_co_u32_e64 v13, s[0:1], 0, v10, s[0:1]
	v_add_co_u32_e64 v14, s[0:1], 1, v4
	v_addc_co_u32_e64 v15, s[0:1], 0, v10, s[0:1]
	v_subb_co_u32_e32 v8, vcc, v6, v8, vcc
	v_cmp_ne_u32_e64 s[0:1], 0, v11
	v_cmp_le_u32_e32 vcc, s19, v8
	v_cndmask_b32_e64 v11, v15, v13, s[0:1]
	v_cndmask_b32_e64 v13, 0, -1, vcc
	v_cmp_le_u32_e32 vcc, s18, v7
	v_cndmask_b32_e64 v7, 0, -1, vcc
	v_cmp_eq_u32_e32 vcc, s19, v8
	v_cndmask_b32_e32 v7, v13, v7, vcc
	v_cmp_ne_u32_e32 vcc, 0, v7
	v_cndmask_b32_e64 v7, v14, v12, s[0:1]
	v_cndmask_b32_e32 v8, v10, v11, vcc
	v_cndmask_b32_e32 v7, v4, v7, vcc
.LBB0_4:                                ;   in Loop: Header=BB0_2 Depth=1
	s_andn2_saveexec_b64 s[0:1], s[20:21]
	s_cbranch_execz .LBB0_6
; %bb.5:                                ;   in Loop: Header=BB0_2 Depth=1
	v_cvt_f32_u32_e32 v4, s18
	s_sub_i32 s20, 0, s18
	v_rcp_iflag_f32_e32 v4, v4
	v_mul_f32_e32 v4, 0x4f7ffffe, v4
	v_cvt_u32_f32_e32 v4, v4
	v_mul_lo_u32 v7, s20, v4
	v_mul_hi_u32 v7, v4, v7
	v_add_u32_e32 v4, v4, v7
	v_mul_hi_u32 v4, v5, v4
	v_mul_lo_u32 v7, v4, s18
	v_add_u32_e32 v8, 1, v4
	v_sub_u32_e32 v7, v5, v7
	v_subrev_u32_e32 v10, s18, v7
	v_cmp_le_u32_e32 vcc, s18, v7
	v_cndmask_b32_e32 v7, v7, v10, vcc
	v_cndmask_b32_e32 v4, v4, v8, vcc
	v_add_u32_e32 v8, 1, v4
	v_cmp_le_u32_e32 vcc, s18, v7
	v_cndmask_b32_e32 v7, v4, v8, vcc
	v_mov_b32_e32 v8, v3
.LBB0_6:                                ;   in Loop: Header=BB0_2 Depth=1
	s_or_b64 exec, exec, s[0:1]
	v_mul_lo_u32 v4, v8, s18
	v_mul_lo_u32 v12, v7, s19
	v_mad_u64_u32 v[10:11], s[0:1], v7, s18, 0
	s_load_dwordx2 s[0:1], s[6:7], 0x0
	s_add_u32 s16, s16, 1
	v_add3_u32 v4, v11, v12, v4
	v_sub_co_u32_e32 v5, vcc, v5, v10
	v_subb_co_u32_e32 v4, vcc, v6, v4, vcc
	s_waitcnt lgkmcnt(0)
	v_mul_lo_u32 v4, s0, v4
	v_mul_lo_u32 v6, s1, v5
	v_mad_u64_u32 v[1:2], s[0:1], s0, v5, v[1:2]
	s_addc_u32 s17, s17, 0
	s_add_u32 s6, s6, 8
	v_add3_u32 v2, v6, v2, v4
	v_mov_b32_e32 v4, s10
	v_mov_b32_e32 v5, s11
	s_addc_u32 s7, s7, 0
	v_cmp_ge_u64_e32 vcc, s[16:17], v[4:5]
	s_add_u32 s14, s14, 8
	s_addc_u32 s15, s15, 0
	s_cbranch_vccnz .LBB0_9
; %bb.7:                                ;   in Loop: Header=BB0_2 Depth=1
	v_mov_b32_e32 v5, v7
	v_mov_b32_e32 v6, v8
	s_branch .LBB0_2
.LBB0_8:
	v_mov_b32_e32 v8, v6
	v_mov_b32_e32 v7, v5
.LBB0_9:
	s_lshl_b64 s[0:1], s[10:11], 3
	s_add_u32 s0, s2, s0
	s_addc_u32 s1, s3, s1
	s_load_dwordx2 s[2:3], s[0:1], 0x0
	s_load_dwordx2 s[6:7], s[4:5], 0x20
	v_mul_u32_u24_e32 v161, 0x1e1, v9
	v_and_b32_e32 v128, 15, v0
	v_lshlrev_b32_e32 v163, 4, v161
	s_waitcnt lgkmcnt(0)
	v_mul_lo_u32 v3, s2, v8
	v_mul_lo_u32 v4, s3, v7
	v_mad_u64_u32 v[1:2], s[0:1], s2, v7, v[1:2]
	v_cmp_gt_u64_e64 s[0:1], s[6:7], v[7:8]
	v_add3_u32 v2, v4, v2, v3
	v_lshlrev_b64 v[130:131], 4, v[1:2]
	s_and_saveexec_b64 s[2:3], s[0:1]
	s_cbranch_execz .LBB0_13
; %bb.10:
	v_mov_b32_e32 v0, s13
	v_add_co_u32_e32 v1, vcc, s12, v130
	v_addc_co_u32_e32 v0, vcc, v0, v131, vcc
	v_lshlrev_b32_e32 v2, 4, v128
	v_add_co_u32_e32 v67, vcc, v1, v2
	v_addc_co_u32_e32 v68, vcc, 0, v0, vcc
	v_or_b32_e32 v69, 0x1000, v2
	v_add_co_u32_e32 v75, vcc, v1, v69
	global_load_dwordx4 v[3:6], v[67:68], off
	global_load_dwordx4 v[7:10], v[67:68], off offset:256
	global_load_dwordx4 v[11:14], v[67:68], off offset:512
	;; [unrolled: 1-line block ×15, first 2 shown]
	v_addc_co_u32_e32 v76, vcc, 0, v0, vcc
	v_or_b32_e32 v67, 0x1100, v2
	v_add_co_u32_e32 v77, vcc, v1, v67
	v_or_b32_e32 v79, 0x1200, v2
	v_addc_co_u32_e32 v78, vcc, 0, v0, vcc
	v_add_co_u32_e32 v83, vcc, v1, v79
	global_load_dwordx4 v[67:70], v[75:76], off
	global_load_dwordx4 v[71:74], v[77:78], off
	v_addc_co_u32_e32 v84, vcc, 0, v0, vcc
	v_or_b32_e32 v75, 0x1300, v2
	v_add_co_u32_e32 v85, vcc, v1, v75
	v_or_b32_e32 v76, 0x1400, v2
	v_addc_co_u32_e32 v86, vcc, 0, v0, vcc
	v_add_co_u32_e32 v91, vcc, v1, v76
	v_addc_co_u32_e32 v92, vcc, 0, v0, vcc
	global_load_dwordx4 v[75:78], v[83:84], off
	global_load_dwordx4 v[79:82], v[85:86], off
	v_or_b32_e32 v83, 0x1500, v2
	v_add_co_u32_e32 v93, vcc, v1, v83
	v_addc_co_u32_e32 v94, vcc, 0, v0, vcc
	global_load_dwordx4 v[83:86], v[91:92], off
	global_load_dwordx4 v[87:90], v[93:94], off
	v_or_b32_e32 v91, 0x1600, v2
	v_add_co_u32_e32 v99, vcc, v1, v91
	v_addc_co_u32_e32 v100, vcc, 0, v0, vcc
	v_or_b32_e32 v91, 0x1700, v2
	v_add_co_u32_e32 v101, vcc, v1, v91
	v_addc_co_u32_e32 v102, vcc, 0, v0, vcc
	global_load_dwordx4 v[91:94], v[99:100], off
	global_load_dwordx4 v[95:98], v[101:102], off
	v_or_b32_e32 v99, 0x1800, v2
	v_add_co_u32_e32 v107, vcc, v1, v99
	v_addc_co_u32_e32 v108, vcc, 0, v0, vcc
	;; [unrolled: 8-line block ×4, first 2 shown]
	v_or_b32_e32 v117, 0x1d00, v2
	v_add_co_u32_e32 v119, vcc, v1, v117
	v_addc_co_u32_e32 v120, vcc, 0, v0, vcc
	global_load_dwordx4 v[115:118], v[115:116], off
	s_nop 0
	global_load_dwordx4 v[119:122], v[119:120], off
	v_add3_u32 v2, 0, v163, v2
	v_cmp_eq_u32_e32 vcc, 15, v128
	s_waitcnt vmcnt(29)
	ds_write_b128 v2, v[3:6]
	s_waitcnt vmcnt(28)
	ds_write_b128 v2, v[7:10] offset:256
	s_waitcnt vmcnt(27)
	ds_write_b128 v2, v[11:14] offset:512
	;; [unrolled: 2-line block ×29, first 2 shown]
	s_and_saveexec_b64 s[4:5], vcc
	s_cbranch_execz .LBB0_12
; %bb.11:
	v_add_co_u32_e32 v3, vcc, 0x1000, v1
	v_addc_co_u32_e32 v4, vcc, 0, v0, vcc
	global_load_dwordx4 v[3:6], v[3:4], off offset:3584
	v_mov_b32_e32 v128, 15
	s_waitcnt vmcnt(0)
	ds_write_b128 v2, v[3:6] offset:7440
.LBB0_12:
	s_or_b64 exec, exec, s[4:5]
.LBB0_13:
	s_or_b64 exec, exec, s[2:3]
	v_lshl_add_u32 v160, v161, 4, 0
	v_lshlrev_b32_e32 v11, 4, v128
	v_add_u32_e32 v162, v160, v11
	s_waitcnt lgkmcnt(0)
	; wave barrier
	s_waitcnt lgkmcnt(0)
	v_sub_u32_e32 v10, v160, v11
	ds_read_b64 v[6:7], v162
	ds_read_b64 v[8:9], v10 offset:7680
	s_add_u32 s2, s8, 0x1d60
	s_addc_u32 s3, s9, 0
	v_cmp_ne_u32_e32 vcc, 0, v128
                                        ; implicit-def: $vgpr4_vgpr5
	s_waitcnt lgkmcnt(0)
	v_add_f64 v[0:1], v[6:7], v[8:9]
	v_add_f64 v[2:3], v[6:7], -v[8:9]
	s_and_saveexec_b64 s[4:5], vcc
	s_xor_b64 s[4:5], exec, s[4:5]
	s_cbranch_execz .LBB0_15
; %bb.14:
	global_load_dwordx4 v[2:5], v11, s[2:3]
	ds_read_b64 v[0:1], v10 offset:7688
	ds_read_b64 v[11:12], v162 offset:8
	v_add_f64 v[13:14], v[6:7], v[8:9]
	v_add_f64 v[8:9], v[6:7], -v[8:9]
	v_mov_b32_e32 v129, 0
	s_waitcnt lgkmcnt(0)
	v_add_f64 v[15:16], v[0:1], v[11:12]
	v_add_f64 v[0:1], v[11:12], -v[0:1]
	s_waitcnt vmcnt(0)
	v_fma_f64 v[6:7], -v[8:9], v[4:5], v[13:14]
	v_fma_f64 v[11:12], v[15:16], v[4:5], -v[0:1]
	v_fma_f64 v[13:14], v[8:9], v[4:5], v[13:14]
	v_fma_f64 v[17:18], v[15:16], v[4:5], v[0:1]
	;; [unrolled: 1-line block ×4, first 2 shown]
	v_fma_f64 v[0:1], -v[15:16], v[2:3], v[13:14]
	v_fma_f64 v[2:3], v[8:9], v[2:3], v[17:18]
	ds_write_b128 v10, v[4:7] offset:7680
	v_mov_b32_e32 v4, v128
	v_mov_b32_e32 v5, v129
.LBB0_15:
	s_andn2_saveexec_b64 s[4:5], s[4:5]
	s_cbranch_execz .LBB0_17
; %bb.16:
	ds_read_b128 v[4:7], v160 offset:3840
	s_waitcnt lgkmcnt(0)
	v_add_f64 v[11:12], v[4:5], v[4:5]
	v_mul_f64 v[13:14], v[6:7], -2.0
	v_mov_b32_e32 v4, 0
	v_mov_b32_e32 v5, 0
	ds_write_b128 v160, v[11:14] offset:3840
.LBB0_17:
	s_or_b64 exec, exec, s[4:5]
	v_lshlrev_b64 v[4:5], 4, v[4:5]
	v_mov_b32_e32 v6, s3
	v_add_co_u32_e32 v4, vcc, s2, v4
	v_addc_co_u32_e32 v5, vcc, v6, v5, vcc
	global_load_dwordx4 v[6:9], v[4:5], off offset:256
	global_load_dwordx4 v[11:14], v[4:5], off offset:512
	ds_write_b128 v162, v[0:3]
	ds_read_b128 v[0:3], v162 offset:256
	ds_read_b128 v[15:18], v10 offset:7424
	global_load_dwordx4 v[19:22], v[4:5], off offset:768
	v_lshl_add_u32 v164, v128, 4, 0
	v_add_u32_e32 v129, v164, v163
	s_mov_b32 s6, 0x134454ff
	s_waitcnt lgkmcnt(0)
	v_add_f64 v[23:24], v[0:1], v[15:16]
	v_add_f64 v[25:26], v[17:18], v[2:3]
	v_add_f64 v[27:28], v[0:1], -v[15:16]
	v_add_f64 v[0:1], v[2:3], -v[17:18]
	s_mov_b32 s7, 0x3fee6f0e
	s_mov_b32 s11, 0xbfee6f0e
	;; [unrolled: 1-line block ×11, first 2 shown]
	v_cmp_gt_u32_e32 vcc, 12, v128
	s_waitcnt vmcnt(2)
	v_fma_f64 v[2:3], v[27:28], v[8:9], v[23:24]
	v_fma_f64 v[15:16], v[25:26], v[8:9], v[0:1]
	v_fma_f64 v[17:18], -v[27:28], v[8:9], v[23:24]
	v_fma_f64 v[8:9], v[25:26], v[8:9], -v[0:1]
	v_fma_f64 v[0:1], -v[25:26], v[6:7], v[2:3]
	v_fma_f64 v[2:3], v[27:28], v[6:7], v[15:16]
	v_fma_f64 v[15:16], v[25:26], v[6:7], v[17:18]
	v_fma_f64 v[17:18], v[27:28], v[6:7], v[8:9]
	ds_write_b128 v162, v[0:3] offset:256
	ds_write_b128 v10, v[15:18] offset:7424
	ds_read_b128 v[0:3], v162 offset:512
	ds_read_b128 v[6:9], v10 offset:7168
	global_load_dwordx4 v[15:18], v[4:5], off offset:1024
	s_waitcnt lgkmcnt(0)
	v_add_f64 v[23:24], v[0:1], v[6:7]
	v_add_f64 v[25:26], v[8:9], v[2:3]
	v_add_f64 v[27:28], v[0:1], -v[6:7]
	v_add_f64 v[0:1], v[2:3], -v[8:9]
	s_waitcnt vmcnt(2)
	v_fma_f64 v[2:3], v[27:28], v[13:14], v[23:24]
	v_fma_f64 v[6:7], v[25:26], v[13:14], v[0:1]
	v_fma_f64 v[8:9], -v[27:28], v[13:14], v[23:24]
	v_fma_f64 v[13:14], v[25:26], v[13:14], -v[0:1]
	v_fma_f64 v[0:1], -v[25:26], v[11:12], v[2:3]
	v_fma_f64 v[2:3], v[27:28], v[11:12], v[6:7]
	v_fma_f64 v[6:7], v[25:26], v[11:12], v[8:9]
	v_fma_f64 v[8:9], v[27:28], v[11:12], v[13:14]
	ds_write_b128 v162, v[0:3] offset:512
	ds_write_b128 v10, v[6:9] offset:7168
	ds_read_b128 v[0:3], v162 offset:768
	ds_read_b128 v[6:9], v10 offset:6912
	global_load_dwordx4 v[11:14], v[4:5], off offset:1280
	s_waitcnt lgkmcnt(0)
	v_add_f64 v[23:24], v[0:1], v[6:7]
	v_add_f64 v[25:26], v[8:9], v[2:3]
	v_add_f64 v[27:28], v[0:1], -v[6:7]
	v_add_f64 v[0:1], v[2:3], -v[8:9]
	;; [unrolled: 19-line block ×11, first 2 shown]
	s_waitcnt vmcnt(2)
	v_fma_f64 v[2:3], v[6:7], v[21:22], v[4:5]
	v_fma_f64 v[8:9], v[23:24], v[21:22], v[0:1]
	v_fma_f64 v[4:5], -v[6:7], v[21:22], v[4:5]
	v_fma_f64 v[21:22], v[23:24], v[21:22], -v[0:1]
	v_fma_f64 v[0:1], -v[23:24], v[19:20], v[2:3]
	v_fma_f64 v[2:3], v[6:7], v[19:20], v[8:9]
	v_fma_f64 v[4:5], v[23:24], v[19:20], v[4:5]
	;; [unrolled: 1-line block ×3, first 2 shown]
	ds_write_b128 v162, v[0:3] offset:3072
	ds_write_b128 v10, v[4:7] offset:4608
	ds_read_b128 v[0:3], v162 offset:3328
	ds_read_b128 v[4:7], v10 offset:4352
	s_waitcnt lgkmcnt(0)
	v_add_f64 v[8:9], v[0:1], v[4:5]
	v_add_f64 v[19:20], v[6:7], v[2:3]
	v_add_f64 v[21:22], v[0:1], -v[4:5]
	v_add_f64 v[0:1], v[2:3], -v[6:7]
	s_waitcnt vmcnt(1)
	v_fma_f64 v[2:3], v[21:22], v[17:18], v[8:9]
	v_fma_f64 v[4:5], v[19:20], v[17:18], v[0:1]
	v_fma_f64 v[6:7], -v[21:22], v[17:18], v[8:9]
	v_fma_f64 v[8:9], v[19:20], v[17:18], -v[0:1]
	v_fma_f64 v[0:1], -v[19:20], v[15:16], v[2:3]
	v_fma_f64 v[2:3], v[21:22], v[15:16], v[4:5]
	v_fma_f64 v[4:5], v[19:20], v[15:16], v[6:7]
	;; [unrolled: 1-line block ×3, first 2 shown]
	ds_write_b128 v162, v[0:3] offset:3328
	ds_write_b128 v10, v[4:7] offset:4352
	ds_read_b128 v[0:3], v162 offset:3584
	ds_read_b128 v[4:7], v10 offset:4096
	s_waitcnt lgkmcnt(0)
	v_add_f64 v[8:9], v[0:1], v[4:5]
	v_add_f64 v[15:16], v[6:7], v[2:3]
	v_add_f64 v[17:18], v[0:1], -v[4:5]
	v_add_f64 v[0:1], v[2:3], -v[6:7]
	s_waitcnt vmcnt(0)
	v_fma_f64 v[2:3], v[17:18], v[13:14], v[8:9]
	v_fma_f64 v[4:5], v[15:16], v[13:14], v[0:1]
	v_fma_f64 v[6:7], -v[17:18], v[13:14], v[8:9]
	v_fma_f64 v[8:9], v[15:16], v[13:14], -v[0:1]
	v_fma_f64 v[0:1], -v[15:16], v[11:12], v[2:3]
	v_fma_f64 v[2:3], v[17:18], v[11:12], v[4:5]
	v_fma_f64 v[4:5], v[15:16], v[11:12], v[6:7]
	;; [unrolled: 1-line block ×3, first 2 shown]
	ds_write_b128 v162, v[0:3] offset:3584
	ds_write_b128 v10, v[4:7] offset:4096
	s_waitcnt lgkmcnt(0)
	; wave barrier
	s_waitcnt lgkmcnt(0)
	s_waitcnt lgkmcnt(0)
	; wave barrier
	s_waitcnt lgkmcnt(0)
	ds_read_b128 v[0:3], v129 offset:4608
	ds_read_b128 v[4:7], v129 offset:3072
	;; [unrolled: 1-line block ×4, first 2 shown]
	ds_read_b128 v[8:11], v162
	ds_read_b128 v[12:15], v129 offset:256
	ds_read_b128 v[24:27], v129 offset:6144
	;; [unrolled: 1-line block ×10, first 2 shown]
	s_waitcnt lgkmcnt(13)
	v_add_f64 v[60:61], v[4:5], v[0:1]
	s_waitcnt lgkmcnt(7)
	v_add_f64 v[64:65], v[28:29], v[24:25]
	v_add_f64 v[82:83], v[8:9], v[28:29]
	v_add_f64 v[72:73], v[6:7], v[2:3]
	v_add_f64 v[76:77], v[30:31], v[26:27]
	v_add_f64 v[86:87], v[10:11], v[30:31]
	v_add_f64 v[70:71], v[30:31], -v[26:27]
	v_add_f64 v[112:113], v[28:29], -v[4:5]
	;; [unrolled: 1-line block ×7, first 2 shown]
	s_waitcnt lgkmcnt(3)
	v_add_f64 v[28:29], v[44:45], v[40:41]
	s_waitcnt lgkmcnt(0)
	v_add_f64 v[30:31], v[56:57], v[52:53]
	v_add_f64 v[100:101], v[48:49], v[56:57]
	v_fma_f64 v[88:89], v[60:61], -0.5, v[8:9]
	v_fma_f64 v[94:95], v[64:65], -0.5, v[8:9]
	v_add_f64 v[4:5], v[82:83], v[4:5]
	v_add_f64 v[8:9], v[16:17], v[20:21]
	v_add_f64 v[66:67], v[6:7], -v[2:3]
	v_add_f64 v[96:97], v[46:47], v[42:43]
	v_add_f64 v[98:99], v[58:59], v[54:55]
	v_add_f64 v[102:103], v[50:51], v[58:59]
	v_fma_f64 v[80:81], v[72:73], -0.5, v[10:11]
	v_fma_f64 v[84:85], v[76:77], -0.5, v[10:11]
	v_add_f64 v[6:7], v[86:87], v[6:7]
	v_fma_f64 v[90:91], v[28:29], -0.5, v[48:49]
	v_fma_f64 v[92:93], v[30:31], -0.5, v[48:49]
	v_add_f64 v[10:11], v[32:33], v[36:37]
	v_add_f64 v[28:29], v[100:101], v[44:45]
	;; [unrolled: 1-line block ×4, first 2 shown]
	v_fma_f64 v[4:5], v[8:9], -0.5, v[12:13]
	v_add_f64 v[8:9], v[14:15], v[34:35]
	v_add_f64 v[120:121], v[24:25], -v[0:1]
	v_add_f64 v[122:123], v[0:1], -v[24:25]
	;; [unrolled: 1-line block ×13, first 2 shown]
	v_fma_f64 v[82:83], v[96:97], -0.5, v[50:51]
	v_fma_f64 v[86:87], v[98:99], -0.5, v[50:51]
	v_add_f64 v[30:31], v[102:103], v[46:47]
	v_add_f64 v[44:45], v[18:19], v[22:23]
	;; [unrolled: 1-line block ×4, first 2 shown]
	v_add_f64 v[136:137], v[40:41], -v[52:53]
	v_fma_f64 v[2:3], v[10:11], -0.5, v[12:13]
	v_add_f64 v[10:11], v[28:29], v[40:41]
	v_add_f64 v[40:41], v[48:49], v[24:25]
	;; [unrolled: 1-line block ×4, first 2 shown]
	v_fma_f64 v[6:7], v[44:45], -0.5, v[14:15]
	v_fma_f64 v[0:1], v[46:47], -0.5, v[14:15]
	v_add_f64 v[14:15], v[30:31], v[42:43]
	v_add_f64 v[46:47], v[50:51], v[26:27]
	v_add_f64 v[138:139], v[32:33], -v[16:17]
	v_add_f64 v[140:141], v[16:17], -v[32:33]
	v_add_f64 v[48:49], v[10:11], v[52:53]
	v_add_f64 v[142:143], v[34:35], -v[18:19]
	v_add_f64 v[144:145], v[18:19], -v[34:35]
	v_add_f64 v[24:25], v[24:25], v[20:21]
	v_add_f64 v[26:27], v[8:9], v[22:23]
	v_add_f64 v[8:9], v[18:19], -v[22:23]
	v_add_f64 v[10:11], v[16:17], -v[20:21]
	;; [unrolled: 1-line block ×6, first 2 shown]
	ds_read_b128 v[16:19], v129 offset:2560
	ds_read_b128 v[20:23], v129 offset:1024
	v_add_f64 v[44:45], v[54:55], -v[42:43]
	v_add_f64 v[42:43], v[42:43], -v[54:55]
	v_add_f64 v[50:51], v[14:15], v[54:55]
	v_add_f64 v[52:53], v[24:25], v[36:37]
	s_waitcnt lgkmcnt(0)
	v_add_f64 v[28:29], v[20:21], v[16:17]
	v_add_f64 v[54:55], v[26:27], v[38:39]
	ds_read_b128 v[24:27], v129 offset:4096
	v_add_f64 v[14:15], v[32:33], -v[36:37]
	v_add_f64 v[12:13], v[34:35], -v[38:39]
	s_waitcnt lgkmcnt(0)
	v_add_f64 v[154:155], v[16:17], -v[24:25]
	v_add_f64 v[32:33], v[28:29], v[24:25]
	v_add_f64 v[28:29], v[22:23], v[18:19]
	v_add_f64 v[156:157], v[24:25], -v[16:17]
	v_add_f64 v[158:159], v[18:19], -v[26:27]
	;; [unrolled: 1-line block ×3, first 2 shown]
	v_add_f64 v[34:35], v[28:29], v[26:27]
	ds_read_b128 v[28:31], v129 offset:5632
	s_waitcnt lgkmcnt(0)
	v_add_f64 v[38:39], v[26:27], v[30:31]
	v_add_f64 v[36:37], v[24:25], v[28:29]
	v_add_f64 v[96:97], v[26:27], -v[30:31]
	v_add_f64 v[98:99], v[24:25], -v[28:29]
	ds_read_b128 v[24:27], v129 offset:7168
	v_fma_f64 v[104:105], v[38:39], -0.5, v[22:23]
	s_waitcnt lgkmcnt(0)
	v_add_f64 v[102:103], v[18:19], -v[26:27]
	v_add_f64 v[60:61], v[16:17], v[24:25]
	v_add_f64 v[100:101], v[16:17], -v[24:25]
	v_add_f64 v[16:17], v[18:19], v[26:27]
	v_add_f64 v[18:19], v[32:33], v[28:29]
	;; [unrolled: 1-line block ×4, first 2 shown]
	v_add_f64 v[34:35], v[46:47], -v[50:51]
	v_add_f64 v[50:51], v[112:113], v[120:121]
	v_fma_f64 v[112:113], v[66:67], s[10:11], v[94:95]
	v_fma_f64 v[94:95], v[66:67], s[6:7], v[94:95]
	v_fma_f64 v[110:111], v[60:61], -0.5, v[20:21]
	v_add_f64 v[60:61], v[114:115], v[122:123]
	v_fma_f64 v[114:115], v[70:71], s[6:7], v[88:89]
	v_fma_f64 v[88:89], v[70:71], s[10:11], v[88:89]
	v_add_f64 v[171:172], v[26:27], -v[30:31]
	v_add_f64 v[173:174], v[30:31], -v[26:27]
	v_fma_f64 v[112:113], v[70:71], s[4:5], v[112:113]
	v_fma_f64 v[70:71], v[70:71], s[2:3], v[94:95]
	;; [unrolled: 1-line block ×4, first 2 shown]
	v_add_f64 v[26:27], v[32:33], v[26:27]
	v_fma_f64 v[108:109], v[36:37], -0.5, v[20:21]
	v_add_f64 v[36:37], v[40:41], v[48:49]
	v_add_f64 v[32:33], v[40:41], -v[48:49]
	v_add_f64 v[48:49], v[116:117], v[124:125]
	v_fma_f64 v[116:117], v[68:69], s[10:11], v[80:81]
	v_fma_f64 v[80:81], v[68:69], s[6:7], v[80:81]
	;; [unrolled: 1-line block ×6, first 2 shown]
	v_add_f64 v[18:19], v[18:19], v[24:25]
	v_add_f64 v[40:41], v[56:57], v[44:45]
	;; [unrolled: 1-line block ×3, first 2 shown]
	v_fma_f64 v[118:119], v[74:75], s[6:7], v[90:91]
	v_fma_f64 v[90:91], v[74:75], s[10:11], v[90:91]
	;; [unrolled: 1-line block ×8, first 2 shown]
	v_add_f64 v[167:168], v[24:25], -v[28:29]
	v_add_f64 v[169:170], v[28:29], -v[24:25]
	v_fma_f64 v[106:107], v[16:17], -0.5, v[22:23]
	v_add_f64 v[28:29], v[52:53], v[18:19]
	v_add_f64 v[30:31], v[54:55], v[26:27]
	v_add_f64 v[24:25], v[52:53], -v[18:19]
	v_add_f64 v[26:27], v[54:55], -v[26:27]
	v_add_f64 v[52:53], v[132:133], v[58:59]
	v_add_f64 v[58:59], v[134:135], v[136:137]
	;; [unrolled: 1-line block ×3, first 2 shown]
	v_fma_f64 v[92:93], v[76:77], s[2:3], v[92:93]
	v_fma_f64 v[76:77], v[76:77], s[4:5], v[86:87]
	;; [unrolled: 1-line block ×34, first 2 shown]
	v_add_f64 v[64:65], v[154:155], v[167:168]
	v_add_f64 v[20:21], v[158:159], v[171:172]
	;; [unrolled: 1-line block ×4, first 2 shown]
	v_fma_f64 v[104:105], v[100:101], s[6:7], v[104:105]
	v_fma_f64 v[110:111], v[100:101], s[2:3], v[110:111]
	;; [unrolled: 1-line block ×5, first 2 shown]
	v_add_f64 v[46:47], v[156:157], v[169:170]
	v_fma_f64 v[84:85], v[50:51], s[16:17], v[90:91]
	v_fma_f64 v[50:51], v[50:51], s[16:17], v[66:67]
	;; [unrolled: 1-line block ×12, first 2 shown]
	v_mul_f64 v[90:91], v[76:77], s[14:15]
	v_mul_f64 v[76:77], v[76:77], s[2:3]
	v_fma_f64 v[108:109], v[44:45], s[16:17], v[2:3]
	v_mul_f64 v[2:3], v[58:59], s[6:7]
	v_fma_f64 v[100:101], v[42:43], s[16:17], v[100:101]
	v_mul_f64 v[42:43], v[56:57], s[16:17]
	v_add_f64 v[16:17], v[138:139], v[146:147]
	v_add_f64 v[18:19], v[142:143], v[150:151]
	v_fma_f64 v[82:83], v[46:47], s[16:17], v[82:83]
	v_fma_f64 v[74:75], v[44:45], s[16:17], v[74:75]
	;; [unrolled: 1-line block ×3, first 2 shown]
	v_mul_f64 v[44:45], v[60:61], s[10:11]
	v_fma_f64 v[46:47], v[78:79], s[4:5], v[90:91]
	v_fma_f64 v[76:77], v[78:79], s[14:15], v[76:77]
	v_mul_f64 v[78:79], v[54:55], s[16:17]
	v_fma_f64 v[2:3], v[60:61], s[16:17], v[2:3]
	v_mul_f64 v[60:61], v[52:53], s[14:15]
	v_fma_f64 v[42:43], v[54:55], s[6:7], -v[42:43]
	v_mul_f64 v[54:55], v[72:73], s[14:15]
	v_mul_f64 v[72:73], v[72:73], s[2:3]
	v_fma_f64 v[66:67], v[10:11], s[2:3], v[66:67]
	v_fma_f64 v[4:5], v[12:13], s[10:11], v[4:5]
	;; [unrolled: 1-line block ×6, first 2 shown]
	v_mul_f64 v[58:59], v[40:41], s[14:15]
	v_fma_f64 v[78:79], v[56:57], s[10:11], -v[78:79]
	v_mul_f64 v[56:57], v[88:89], s[6:7]
	v_fma_f64 v[40:41], v[40:41], s[4:5], -v[60:61]
	v_mul_f64 v[60:61], v[82:83], s[10:11]
	v_fma_f64 v[118:119], v[80:81], s[4:5], v[54:55]
	v_fma_f64 v[72:73], v[80:81], s[14:15], v[72:73]
	;; [unrolled: 1-line block ×7, first 2 shown]
	v_fma_f64 v[110:111], v[52:53], s[2:3], -v[58:59]
	v_fma_f64 v[122:123], v[14:15], s[2:3], v[48:49]
	v_fma_f64 v[124:125], v[82:83], s[16:17], v[56:57]
	;; [unrolled: 1-line block ×3, first 2 shown]
	v_add_f64 v[88:89], v[84:85], v[46:47]
	v_add_f64 v[90:91], v[86:87], v[76:77]
	v_add_f64 v[60:61], v[84:85], -v[46:47]
	v_add_f64 v[62:63], v[86:87], -v[76:77]
	v_add_f64 v[84:85], v[116:117], v[2:3]
	v_add_f64 v[86:87], v[94:95], v[44:45]
	v_add_f64 v[56:57], v[116:117], -v[2:3]
	v_add_f64 v[58:59], v[94:95], -v[44:45]
	v_add_f64 v[80:81], v[70:71], v[42:43]
	v_add_f64 v[52:53], v[70:71], -v[42:43]
	v_add_f64 v[76:77], v[50:51], v[40:41]
	;; [unrolled: 2-line block ×3, first 2 shown]
	v_add_f64 v[46:47], v[66:67], v[72:73]
	v_add_f64 v[40:41], v[0:1], -v[118:119]
	v_add_f64 v[42:43], v[66:67], -v[72:73]
	ds_read_b128 v[0:3], v129 offset:512
	v_fma_f64 v[66:67], v[14:15], s[4:5], v[120:121]
	ds_read_b128 v[12:15], v129 offset:2048
	v_fma_f64 v[70:71], v[64:65], s[16:17], v[96:97]
	v_fma_f64 v[20:21], v[20:21], s[16:17], v[98:99]
	;; [unrolled: 1-line block ×4, first 2 shown]
	s_waitcnt lgkmcnt(0)
	v_add_f64 v[16:17], v[0:1], v[12:13]
	v_add_f64 v[18:19], v[2:3], v[14:15]
	;; [unrolled: 1-line block ×3, first 2 shown]
	ds_read_b128 v[104:107], v129 offset:3584
	ds_read_b128 v[112:115], v129 offset:5120
	v_add_f64 v[82:83], v[68:69], v[78:79]
	v_add_f64 v[54:55], v[68:69], -v[78:79]
	v_mul_f64 v[68:69], v[102:103], s[16:17]
	v_mul_f64 v[64:65], v[100:101], s[16:17]
	;; [unrolled: 1-line block ×4, first 2 shown]
	s_waitcnt lgkmcnt(1)
	v_add_f64 v[116:117], v[16:17], v[104:105]
	v_add_f64 v[118:119], v[18:19], v[106:107]
	v_fma_f64 v[72:73], v[22:23], s[16:17], v[122:123]
	v_fma_f64 v[22:23], v[22:23], s[16:17], v[66:67]
	v_fma_f64 v[68:69], v[100:101], s[6:7], -v[68:69]
	v_fma_f64 v[100:101], v[102:103], s[10:11], -v[64:65]
	;; [unrolled: 1-line block ×4, first 2 shown]
	s_waitcnt lgkmcnt(0)
	v_add_f64 v[116:117], v[116:117], v[112:113]
	v_add_f64 v[118:119], v[118:119], v[114:115]
	v_add_f64 v[78:79], v[92:93], v[110:111]
	v_add_f64 v[50:51], v[92:93], -v[110:111]
	v_add_f64 v[92:93], v[74:75], v[124:125]
	v_add_f64 v[94:95], v[72:73], v[126:127]
	v_add_f64 v[64:65], v[74:75], -v[124:125]
	v_add_f64 v[66:67], v[72:73], -v[126:127]
	v_add_f64 v[96:97], v[108:109], v[68:69]
	v_add_f64 v[98:99], v[22:23], v[100:101]
	v_add_f64 v[72:73], v[108:109], -v[68:69]
	;; [unrolled: 4-line block ×3, first 2 shown]
	v_add_f64 v[70:71], v[6:7], -v[10:11]
	v_add_f64 v[108:109], v[104:105], v[112:113]
	v_add_f64 v[16:17], v[106:107], -v[114:115]
	v_add_f64 v[4:5], v[12:13], -v[104:105]
	;; [unrolled: 1-line block ×3, first 2 shown]
	v_add_f64 v[110:111], v[106:107], v[114:115]
	v_add_f64 v[18:19], v[104:105], -v[112:113]
	v_add_f64 v[6:7], v[14:15], -v[106:107]
	;; [unrolled: 1-line block ×3, first 2 shown]
	ds_read_b128 v[104:107], v129 offset:6656
	s_waitcnt lgkmcnt(0)
	v_add_f64 v[20:21], v[14:15], -v[106:107]
	v_add_f64 v[132:133], v[12:13], v[104:105]
	v_add_f64 v[22:23], v[12:13], -v[104:105]
	v_add_f64 v[134:135], v[14:15], v[106:107]
	v_add_f64 v[136:137], v[104:105], -v[112:113]
	v_add_f64 v[12:13], v[112:113], -v[104:105]
	;; [unrolled: 1-line block ×4, first 2 shown]
	v_add_f64 v[140:141], v[116:117], v[104:105]
	v_add_f64 v[142:143], v[118:119], v[106:107]
	ds_read_b128 v[112:115], v129 offset:1280
	ds_read_b128 v[116:119], v129 offset:2816
	;; [unrolled: 1-line block ×4, first 2 shown]
	v_add_f64 v[136:137], v[4:5], v[136:137]
	v_add_f64 v[138:139], v[6:7], v[138:139]
	s_waitcnt lgkmcnt(2)
	v_add_f64 v[104:105], v[112:113], v[116:117]
	s_waitcnt lgkmcnt(1)
	v_add_f64 v[150:151], v[116:117], -v[120:121]
	s_waitcnt lgkmcnt(0)
	v_add_f64 v[148:149], v[120:121], v[124:125]
	v_add_f64 v[106:107], v[122:123], -v[126:127]
	v_add_f64 v[152:153], v[120:121], -v[116:117]
	v_add_f64 v[154:155], v[122:123], v[126:127]
	v_add_f64 v[156:157], v[118:119], -v[122:123]
	v_add_f64 v[158:159], v[122:123], -v[118:119]
	v_add_f64 v[144:145], v[104:105], v[120:121]
	v_add_f64 v[104:105], v[114:115], v[118:119]
	v_fma_f64 v[148:149], v[148:149], -0.5, v[112:113]
	v_fma_f64 v[134:135], v[134:135], -0.5, v[2:3]
	v_add_f64 v[12:13], v[8:9], v[12:13]
	v_fma_f64 v[154:155], v[154:155], -0.5, v[114:115]
	v_add_f64 v[14:15], v[10:11], v[14:15]
	v_add_f64 v[146:147], v[104:105], v[122:123]
	v_add_f64 v[104:105], v[120:121], -v[124:125]
	ds_read_b128 v[120:123], v129 offset:7424
	s_waitcnt lgkmcnt(0)
	; wave barrier
	s_waitcnt lgkmcnt(0)
	v_add_f64 v[165:166], v[118:119], -v[122:123]
	v_add_f64 v[167:168], v[116:117], v[120:121]
	v_add_f64 v[169:170], v[116:117], -v[120:121]
	v_add_f64 v[116:117], v[118:119], v[122:123]
	v_add_f64 v[118:119], v[144:145], v[124:125]
	v_add_f64 v[144:145], v[146:147], v[126:127]
	v_add_f64 v[146:147], v[120:121], -v[124:125]
	v_add_f64 v[124:125], v[124:125], -v[120:121]
	v_fma_f64 v[4:5], v[165:166], s[6:7], v[148:149]
	v_add_f64 v[171:172], v[122:123], -v[126:127]
	v_add_f64 v[126:127], v[126:127], -v[122:123]
	v_fma_f64 v[6:7], v[169:170], s[10:11], v[154:155]
	v_add_f64 v[118:119], v[118:119], v[120:121]
	v_add_f64 v[120:121], v[144:145], v[122:123]
	v_fma_f64 v[144:145], v[108:109], -0.5, v[0:1]
	v_fma_f64 v[122:123], v[132:133], -0.5, v[0:1]
	v_fma_f64 v[4:5], v[106:107], s[4:5], v[4:5]
	v_fma_f64 v[132:133], v[110:111], -0.5, v[2:3]
	v_fma_f64 v[167:168], v[167:168], -0.5, v[112:113]
	v_fma_f64 v[6:7], v[104:105], s[2:3], v[6:7]
	v_add_f64 v[108:109], v[140:141], v[118:119]
	v_add_f64 v[0:1], v[140:141], -v[118:119]
	v_add_f64 v[140:141], v[150:151], v[146:147]
	v_add_f64 v[110:111], v[142:143], v[120:121]
	v_add_f64 v[2:3], v[142:143], -v[120:121]
	v_add_f64 v[142:143], v[156:157], v[171:172]
	v_fma_f64 v[173:174], v[116:117], -0.5, v[114:115]
	v_add_f64 v[120:121], v[152:153], v[124:125]
	v_add_f64 v[124:125], v[158:159], v[126:127]
	v_fma_f64 v[10:11], v[106:107], s[10:11], v[167:168]
	v_fma_f64 v[4:5], v[140:141], s[16:17], v[4:5]
	;; [unrolled: 1-line block ×5, first 2 shown]
	v_mul_f64 v[112:113], v[4:5], s[14:15]
	v_mul_f64 v[4:5], v[4:5], s[2:3]
	v_fma_f64 v[8:9], v[169:170], s[2:3], v[8:9]
	v_fma_f64 v[10:11], v[120:121], s[16:17], v[10:11]
	;; [unrolled: 1-line block ×11, first 2 shown]
	v_add_f64 v[112:113], v[4:5], v[116:117]
	v_add_f64 v[4:5], v[4:5], -v[116:117]
	v_mul_f64 v[116:117], v[8:9], s[6:7]
	v_add_f64 v[114:115], v[118:119], v[6:7]
	v_add_f64 v[6:7], v[118:119], -v[6:7]
	v_fma_f64 v[126:127], v[10:11], s[16:17], v[116:117]
	v_mul_f64 v[10:11], v[10:11], s[10:11]
	v_fma_f64 v[116:117], v[18:19], s[6:7], v[134:135]
	v_fma_f64 v[10:11], v[8:9], s[16:17], v[10:11]
	;; [unrolled: 1-line block ×13, first 2 shown]
	v_add_f64 v[118:119], v[146:147], v[10:11]
	v_add_f64 v[10:11], v[146:147], -v[10:11]
	v_add_f64 v[116:117], v[8:9], v[126:127]
	v_add_f64 v[8:9], v[8:9], -v[126:127]
	v_fma_f64 v[122:123], v[22:23], s[4:5], v[122:123]
	v_fma_f64 v[22:23], v[22:23], s[6:7], v[132:133]
	;; [unrolled: 1-line block ×10, first 2 shown]
	v_mul_f64 v[124:125], v[120:121], s[16:17]
	v_fma_f64 v[124:125], v[122:123], s[6:7], -v[124:125]
	v_mul_f64 v[122:123], v[122:123], s[16:17]
	v_fma_f64 v[126:127], v[120:121], s[10:11], -v[122:123]
	v_add_f64 v[120:121], v[12:13], v[124:125]
	v_add_f64 v[12:13], v[12:13], -v[124:125]
	v_fma_f64 v[124:125], v[165:166], s[10:11], v[148:149]
	v_add_f64 v[122:123], v[14:15], v[126:127]
	v_add_f64 v[14:15], v[14:15], -v[126:127]
	v_fma_f64 v[126:127], v[169:170], s[6:7], v[154:155]
	v_fma_f64 v[106:107], v[106:107], s[2:3], v[124:125]
	;; [unrolled: 1-line block ×7, first 2 shown]
	v_mul_f64 v[18:19], v[22:23], s[14:15]
	v_fma_f64 v[20:21], v[16:17], s[4:5], -v[18:19]
	v_mul_f64 v[16:17], v[16:17], s[14:15]
	v_fma_f64 v[22:23], v[22:23], s[2:3], -v[16:17]
	v_add_f64 v[16:17], v[104:105], v[20:21]
	v_add_f64 v[20:21], v[104:105], -v[20:21]
	v_mul_u32_u24_e32 v104, 10, v128
	v_lshlrev_b32_e32 v104, 4, v104
	v_add3_u32 v104, 0, v104, v163
	v_add_f64 v[18:19], v[106:107], v[22:23]
	v_add_f64 v[22:23], v[106:107], -v[22:23]
	ds_write_b128 v104, v[36:39]
	ds_write_b128 v104, v[88:91] offset:16
	ds_write_b128 v104, v[84:87] offset:32
	;; [unrolled: 1-line block ×29, first 2 shown]
	s_waitcnt lgkmcnt(0)
	; wave barrier
	s_waitcnt lgkmcnt(0)
	ds_read_b128 v[40:43], v162
	ds_read_b128 v[36:39], v129 offset:256
	ds_read_b128 v[116:119], v129 offset:1920
	;; [unrolled: 1-line block ×23, first 2 shown]
                                        ; implicit-def: $vgpr26_vgpr27
                                        ; implicit-def: $vgpr30_vgpr31
	s_and_saveexec_b64 s[2:3], vcc
	s_cbranch_execz .LBB0_19
; %bb.18:
	ds_read_b128 v[16:19], v129 offset:768
	ds_read_b128 v[0:3], v129 offset:1728
	;; [unrolled: 1-line block ×8, first 2 shown]
.LBB0_19:
	s_or_b64 exec, exec, s[2:3]
	v_add_u32_e32 v132, -10, v128
	v_cmp_gt_u32_e64 s[2:3], 10, v128
	v_cndmask_b32_e64 v165, v132, v128, s[2:3]
	v_mul_i32_i24_e32 v132, 7, v165
	v_mov_b32_e32 v133, 0
	v_lshlrev_b64 v[132:133], 4, v[132:133]
	v_mov_b32_e32 v166, 10
	v_add_co_u32_e64 v152, s[2:3], s8, v132
	v_mov_b32_e32 v132, s9
	v_addc_co_u32_e64 v153, s[2:3], v132, v133, s[2:3]
	global_load_dwordx4 v[136:139], v[152:153], off offset:48
	global_load_dwordx4 v[140:143], v[152:153], off offset:32
	;; [unrolled: 1-line block ×3, first 2 shown]
	global_load_dwordx4 v[148:151], v[152:153], off
	v_mov_b32_e32 v169, 4
	v_mov_b32_e32 v170, 7
	s_mov_b32 s4, 0x667f3bcd
	s_mov_b32 s5, 0xbfe6a09e
	;; [unrolled: 1-line block ×4, first 2 shown]
	v_cmp_lt_u32_e64 s[2:3], 9, v128
	s_movk_i32 s10, 0x50
	s_waitcnt vmcnt(0) lgkmcnt(14)
	v_mul_f64 v[132:133], v[126:127], v[150:151]
	v_fma_f64 v[132:133], v[124:125], v[148:149], -v[132:133]
	v_mul_f64 v[124:125], v[124:125], v[150:151]
	v_fma_f64 v[124:125], v[126:127], v[148:149], v[124:125]
	v_mul_f64 v[126:127], v[118:119], v[146:147]
	v_fma_f64 v[126:127], v[116:117], v[144:145], -v[126:127]
	v_mul_f64 v[116:117], v[116:117], v[146:147]
	v_fma_f64 v[134:135], v[118:119], v[144:145], v[116:117]
	s_waitcnt lgkmcnt(11)
	v_mul_f64 v[116:117], v[122:123], v[142:143]
	v_mul_f64 v[118:119], v[120:121], v[142:143]
	v_fma_f64 v[116:117], v[120:121], v[140:141], -v[116:117]
	v_mul_f64 v[120:121], v[114:115], v[138:139]
	v_fma_f64 v[118:119], v[122:123], v[140:141], v[118:119]
	v_fma_f64 v[120:121], v[112:113], v[136:137], -v[120:121]
	v_mul_f64 v[112:113], v[112:113], v[138:139]
	global_load_dwordx4 v[138:141], v[152:153], off offset:96
	global_load_dwordx4 v[142:145], v[152:153], off offset:80
	;; [unrolled: 1-line block ×3, first 2 shown]
	v_fma_f64 v[122:123], v[114:115], v[136:137], v[112:113]
	s_waitcnt vmcnt(0) lgkmcnt(7)
	v_mul_f64 v[112:113], v[110:111], v[148:149]
	v_fma_f64 v[112:113], v[108:109], v[146:147], -v[112:113]
	v_mul_f64 v[108:109], v[108:109], v[148:149]
	v_fma_f64 v[110:111], v[110:111], v[146:147], v[108:109]
	v_mul_f64 v[108:109], v[102:103], v[144:145]
	v_fma_f64 v[136:137], v[100:101], v[142:143], -v[108:109]
	v_mul_f64 v[100:101], v[100:101], v[144:145]
	v_fma_f64 v[114:115], v[102:103], v[142:143], v[100:101]
	s_waitcnt lgkmcnt(3)
	v_mul_f64 v[100:101], v[106:107], v[140:141]
	v_fma_f64 v[108:109], v[104:105], v[138:139], -v[100:101]
	v_mul_f64 v[100:101], v[104:105], v[140:141]
	v_fma_f64 v[104:105], v[106:107], v[138:139], v[100:101]
	v_or_b32_e32 v100, 16, v128
	v_mul_lo_u16_e32 v167, 26, v100
	v_mul_lo_u16_sdwa v101, v167, v166 dst_sel:DWORD dst_unused:UNUSED_PAD src0_sel:BYTE_1 src1_sel:DWORD
	v_sub_u16_e32 v168, v100, v101
	v_mul_lo_u16_e32 v100, 7, v168
	v_lshlrev_b32_sdwa v106, v169, v100 dst_sel:DWORD dst_unused:UNUSED_PAD src0_sel:DWORD src1_sel:BYTE_0
	global_load_dwordx4 v[138:141], v106, s[8:9] offset:48
	global_load_dwordx4 v[142:145], v106, s[8:9] offset:32
	;; [unrolled: 1-line block ×3, first 2 shown]
	global_load_dwordx4 v[150:153], v106, s[8:9]
	s_waitcnt vmcnt(0)
	v_mul_f64 v[100:101], v[98:99], v[152:153]
	v_fma_f64 v[100:101], v[96:97], v[150:151], -v[100:101]
	v_mul_f64 v[96:97], v[96:97], v[152:153]
	v_fma_f64 v[96:97], v[98:99], v[150:151], v[96:97]
	v_mul_f64 v[98:99], v[90:91], v[148:149]
	v_fma_f64 v[98:99], v[88:89], v[146:147], -v[98:99]
	v_mul_f64 v[88:89], v[88:89], v[148:149]
	v_fma_f64 v[102:103], v[90:91], v[146:147], v[88:89]
	v_mul_f64 v[88:89], v[94:95], v[144:145]
	v_mul_f64 v[90:91], v[92:93], v[144:145]
	v_fma_f64 v[88:89], v[92:93], v[142:143], -v[88:89]
	v_mul_f64 v[92:93], v[86:87], v[140:141]
	v_fma_f64 v[90:91], v[94:95], v[142:143], v[90:91]
	v_fma_f64 v[92:93], v[84:85], v[138:139], -v[92:93]
	v_mul_f64 v[84:85], v[84:85], v[140:141]
	v_add_f64 v[92:93], v[36:37], -v[92:93]
	v_fma_f64 v[94:95], v[86:87], v[138:139], v[84:85]
	global_load_dwordx4 v[84:87], v106, s[8:9] offset:96
	global_load_dwordx4 v[146:149], v106, s[8:9] offset:80
	;; [unrolled: 1-line block ×3, first 2 shown]
	v_fma_f64 v[36:37], v[36:37], 2.0, -v[92:93]
	v_add_f64 v[94:95], v[38:39], -v[94:95]
	v_fma_f64 v[38:39], v[38:39], 2.0, -v[94:95]
	s_waitcnt vmcnt(0)
	v_mul_f64 v[106:107], v[82:83], v[144:145]
	v_fma_f64 v[140:141], v[80:81], v[142:143], -v[106:107]
	v_mul_f64 v[80:81], v[80:81], v[144:145]
	v_fma_f64 v[142:143], v[82:83], v[142:143], v[80:81]
	v_mul_f64 v[80:81], v[74:75], v[148:149]
	v_fma_f64 v[144:145], v[72:73], v[146:147], -v[80:81]
	v_mul_f64 v[72:73], v[72:73], v[148:149]
	v_fma_f64 v[146:147], v[74:75], v[146:147], v[72:73]
	s_waitcnt lgkmcnt(1)
	v_mul_f64 v[72:73], v[78:79], v[86:87]
	v_fma_f64 v[106:107], v[76:77], v[84:85], -v[72:73]
	v_mul_f64 v[72:73], v[76:77], v[86:87]
	v_add_f64 v[106:107], v[88:89], -v[106:107]
	v_fma_f64 v[138:139], v[78:79], v[84:85], v[72:73]
	v_or_b32_e32 v72, 32, v128
	v_mul_lo_u16_e32 v171, 26, v72
	v_mul_lo_u16_sdwa v73, v171, v166 dst_sel:DWORD dst_unused:UNUSED_PAD src0_sel:BYTE_1 src1_sel:DWORD
	v_sub_u16_e32 v172, v72, v73
	v_mul_u32_u24_sdwa v72, v172, v170 dst_sel:DWORD dst_unused:UNUSED_PAD src0_sel:BYTE_0 src1_sel:DWORD
	v_lshlrev_b32_e32 v152, 4, v72
	global_load_dwordx4 v[148:151], v152, s[8:9] offset:48
	global_load_dwordx4 v[84:87], v152, s[8:9] offset:32
	;; [unrolled: 1-line block ×3, first 2 shown]
	global_load_dwordx4 v[78:81], v152, s[8:9]
	v_fma_f64 v[88:89], v[88:89], 2.0, -v[106:107]
	s_waitcnt vmcnt(0)
	v_mul_f64 v[76:77], v[70:71], v[80:81]
	v_fma_f64 v[76:77], v[68:69], v[78:79], -v[76:77]
	v_mul_f64 v[68:69], v[68:69], v[80:81]
	v_fma_f64 v[78:79], v[70:71], v[78:79], v[68:69]
	v_mul_f64 v[68:69], v[66:67], v[74:75]
	v_fma_f64 v[80:81], v[64:65], v[72:73], -v[68:69]
	v_mul_f64 v[64:65], v[64:65], v[74:75]
	v_fma_f64 v[82:83], v[66:67], v[72:73], v[64:65]
	;; [unrolled: 4-line block ×3, first 2 shown]
	v_mul_f64 v[60:61], v[58:59], v[150:151]
	v_fma_f64 v[84:85], v[56:57], v[148:149], -v[60:61]
	v_mul_f64 v[56:57], v[56:57], v[150:151]
	v_add_f64 v[84:85], v[32:33], -v[84:85]
	v_fma_f64 v[86:87], v[58:59], v[148:149], v[56:57]
	global_load_dwordx4 v[56:59], v152, s[8:9] offset:96
	global_load_dwordx4 v[60:63], v152, s[8:9] offset:80
	;; [unrolled: 1-line block ×3, first 2 shown]
	s_waitcnt lgkmcnt(0)
	; wave barrier
	s_waitcnt lgkmcnt(0)
	v_fma_f64 v[32:33], v[32:33], 2.0, -v[84:85]
	v_add_f64 v[86:87], v[34:35], -v[86:87]
	v_fma_f64 v[34:35], v[34:35], 2.0, -v[86:87]
	s_waitcnt vmcnt(0)
	v_mul_f64 v[68:69], v[54:55], v[66:67]
	v_fma_f64 v[152:153], v[52:53], v[64:65], -v[68:69]
	v_mul_f64 v[52:53], v[52:53], v[66:67]
	v_add_f64 v[66:67], v[118:119], -v[104:105]
	v_fma_f64 v[154:155], v[54:55], v[64:65], v[52:53]
	v_mul_f64 v[52:53], v[50:51], v[62:63]
	v_add_f64 v[64:65], v[116:117], -v[108:109]
	v_fma_f64 v[70:71], v[118:119], 2.0, -v[66:67]
	v_fma_f64 v[156:157], v[48:49], v[60:61], -v[52:53]
	v_mul_f64 v[48:49], v[48:49], v[62:63]
	v_fma_f64 v[68:69], v[116:117], 2.0, -v[64:65]
	v_fma_f64 v[158:159], v[50:51], v[60:61], v[48:49]
	v_mul_f64 v[48:49], v[46:47], v[58:59]
	v_add_f64 v[50:51], v[134:135], -v[114:115]
	v_fma_f64 v[148:149], v[44:45], v[56:57], -v[48:49]
	v_mul_f64 v[44:45], v[44:45], v[58:59]
	v_add_f64 v[48:49], v[126:127], -v[136:137]
	v_add_f64 v[58:59], v[124:125], -v[110:111]
	v_fma_f64 v[54:55], v[134:135], 2.0, -v[50:51]
	v_fma_f64 v[150:151], v[46:47], v[56:57], v[44:45]
	v_add_f64 v[44:45], v[40:41], -v[120:121]
	v_add_f64 v[56:57], v[132:133], -v[112:113]
	;; [unrolled: 1-line block ×3, first 2 shown]
	v_fma_f64 v[52:53], v[126:127], 2.0, -v[48:49]
	v_fma_f64 v[62:63], v[124:125], 2.0, -v[58:59]
	v_add_f64 v[120:121], v[58:59], v[64:65]
	v_fma_f64 v[40:41], v[40:41], 2.0, -v[44:45]
	v_fma_f64 v[60:61], v[132:133], 2.0, -v[56:57]
	v_fma_f64 v[42:43], v[42:43], 2.0, -v[46:47]
	v_add_f64 v[110:111], v[44:45], -v[50:51]
	v_add_f64 v[70:71], v[62:63], -v[70:71]
	;; [unrolled: 1-line block ×3, first 2 shown]
	v_add_f64 v[112:113], v[46:47], v[48:49]
	v_fma_f64 v[48:49], v[58:59], 2.0, -v[120:121]
	v_add_f64 v[104:105], v[40:41], -v[52:53]
	v_add_f64 v[68:69], v[60:61], -v[68:69]
	;; [unrolled: 1-line block ×3, first 2 shown]
	v_fma_f64 v[114:115], v[44:45], 2.0, -v[110:111]
	v_fma_f64 v[50:51], v[56:57], 2.0, -v[118:119]
	;; [unrolled: 1-line block ×3, first 2 shown]
	v_fma_f64 v[56:57], v[118:119], s[6:7], v[110:111]
	v_fma_f64 v[52:53], v[40:41], 2.0, -v[104:105]
	v_fma_f64 v[40:41], v[60:61], 2.0, -v[68:69]
	;; [unrolled: 1-line block ×4, first 2 shown]
	v_fma_f64 v[58:59], v[120:121], s[6:7], v[112:113]
	v_fma_f64 v[56:57], v[120:121], s[4:5], v[56:57]
	v_add_f64 v[40:41], v[52:53], -v[40:41]
	v_add_f64 v[42:43], v[54:55], -v[42:43]
	v_fma_f64 v[58:59], v[118:119], s[6:7], v[58:59]
	v_fma_f64 v[44:45], v[52:53], 2.0, -v[40:41]
	v_fma_f64 v[52:53], v[50:51], s[4:5], v[114:115]
	v_fma_f64 v[46:47], v[54:55], 2.0, -v[42:43]
	v_fma_f64 v[54:55], v[48:49], s[4:5], v[116:117]
	v_fma_f64 v[48:49], v[48:49], s[4:5], v[52:53]
	v_add_f64 v[52:53], v[104:105], -v[70:71]
	v_fma_f64 v[50:51], v[50:51], s[6:7], v[54:55]
	v_add_f64 v[54:55], v[108:109], v[68:69]
	v_fma_f64 v[68:69], v[110:111], 2.0, -v[56:57]
	v_add_f64 v[110:111], v[100:101], -v[140:141]
	v_fma_f64 v[70:71], v[112:113], 2.0, -v[58:59]
	v_add_f64 v[112:113], v[96:97], -v[142:143]
	v_fma_f64 v[60:61], v[114:115], 2.0, -v[48:49]
	v_fma_f64 v[64:65], v[104:105], 2.0, -v[52:53]
	v_add_f64 v[104:105], v[98:99], -v[144:145]
	v_fma_f64 v[62:63], v[116:117], 2.0, -v[50:51]
	v_fma_f64 v[66:67], v[108:109], 2.0, -v[54:55]
	;; [unrolled: 1-line block ×3, first 2 shown]
	v_add_f64 v[108:109], v[102:103], -v[146:147]
	v_add_f64 v[114:115], v[90:91], -v[138:139]
	v_add_f64 v[132:133], v[112:113], v[106:107]
	v_fma_f64 v[96:97], v[96:97], 2.0, -v[112:113]
	v_fma_f64 v[98:99], v[98:99], 2.0, -v[104:105]
	v_add_f64 v[122:123], v[94:95], v[104:105]
	v_add_f64 v[124:125], v[100:101], -v[88:89]
	v_add_f64 v[120:121], v[92:93], -v[108:109]
	v_fma_f64 v[102:103], v[102:103], 2.0, -v[108:109]
	v_fma_f64 v[90:91], v[90:91], 2.0, -v[114:115]
	v_add_f64 v[114:115], v[110:111], -v[114:115]
	v_add_f64 v[116:117], v[36:37], -v[98:99]
	v_fma_f64 v[108:109], v[94:95], 2.0, -v[122:123]
	v_fma_f64 v[104:105], v[92:93], 2.0, -v[120:121]
	;; [unrolled: 1-line block ×3, first 2 shown]
	v_add_f64 v[118:119], v[38:39], -v[102:103]
	v_add_f64 v[126:127], v[96:97], -v[90:91]
	v_fma_f64 v[98:99], v[36:37], 2.0, -v[116:117]
	v_fma_f64 v[36:37], v[100:101], 2.0, -v[124:125]
	;; [unrolled: 1-line block ×3, first 2 shown]
	v_fma_f64 v[110:111], v[132:133], s[6:7], v[122:123]
	v_fma_f64 v[102:103], v[38:39], 2.0, -v[118:119]
	v_fma_f64 v[38:39], v[96:97], 2.0, -v[126:127]
	v_add_f64 v[100:101], v[116:117], -v[126:127]
	v_add_f64 v[36:37], v[98:99], -v[36:37]
	v_fma_f64 v[96:97], v[94:95], s[4:5], v[104:105]
	v_fma_f64 v[110:111], v[114:115], s[6:7], v[110:111]
	v_add_f64 v[126:127], v[74:75], -v[150:151]
	v_add_f64 v[38:39], v[102:103], -v[38:39]
	v_fma_f64 v[88:89], v[98:99], 2.0, -v[36:37]
	v_fma_f64 v[98:99], v[92:93], s[4:5], v[108:109]
	v_fma_f64 v[92:93], v[92:93], s[4:5], v[96:97]
	v_fma_f64 v[74:75], v[74:75], 2.0, -v[126:127]
	v_fma_f64 v[90:91], v[102:103], 2.0, -v[38:39]
	v_add_f64 v[102:103], v[118:119], v[124:125]
	v_add_f64 v[124:125], v[72:73], -v[148:149]
	v_fma_f64 v[94:95], v[94:95], s[6:7], v[98:99]
	v_fma_f64 v[96:97], v[104:105], 2.0, -v[92:93]
	v_fma_f64 v[104:105], v[116:117], 2.0, -v[100:101]
	v_add_f64 v[116:117], v[80:81], -v[156:157]
	v_fma_f64 v[106:107], v[118:119], 2.0, -v[102:103]
	v_add_f64 v[118:119], v[82:83], -v[158:159]
	v_fma_f64 v[98:99], v[108:109], 2.0, -v[94:95]
	v_fma_f64 v[108:109], v[114:115], s[6:7], v[120:121]
	v_fma_f64 v[114:115], v[122:123], 2.0, -v[110:111]
	v_add_f64 v[122:123], v[78:79], -v[154:155]
	v_fma_f64 v[80:81], v[80:81], 2.0, -v[116:117]
	v_fma_f64 v[72:73], v[72:73], 2.0, -v[124:125]
	v_add_f64 v[138:139], v[86:87], v[116:117]
	v_fma_f64 v[82:83], v[82:83], 2.0, -v[118:119]
	v_add_f64 v[136:137], v[84:85], -v[118:119]
	v_fma_f64 v[108:109], v[132:133], s[4:5], v[108:109]
	v_fma_f64 v[78:79], v[78:79], 2.0, -v[122:123]
	v_add_f64 v[132:133], v[32:33], -v[80:81]
	v_add_f64 v[124:125], v[122:123], v[124:125]
	v_fma_f64 v[86:87], v[86:87], 2.0, -v[138:139]
	v_add_f64 v[134:135], v[34:35], -v[82:83]
	v_fma_f64 v[84:85], v[84:85], 2.0, -v[136:137]
	v_fma_f64 v[112:113], v[120:121], 2.0, -v[108:109]
	v_add_f64 v[120:121], v[76:77], -v[152:153]
	v_add_f64 v[118:119], v[78:79], -v[74:75]
	v_fma_f64 v[80:81], v[32:33], 2.0, -v[132:133]
	v_fma_f64 v[82:83], v[34:35], 2.0, -v[134:135]
	v_fma_f64 v[76:77], v[76:77], 2.0, -v[120:121]
	v_add_f64 v[126:127], v[120:121], -v[126:127]
	v_fma_f64 v[34:35], v[78:79], 2.0, -v[118:119]
	v_add_f64 v[116:117], v[76:77], -v[72:73]
	v_fma_f64 v[78:79], v[120:121], 2.0, -v[126:127]
	v_add_f64 v[34:35], v[82:83], -v[34:35]
	v_fma_f64 v[120:121], v[126:127], s[6:7], v[136:137]
	v_fma_f64 v[32:33], v[76:77], 2.0, -v[116:117]
	v_fma_f64 v[76:77], v[122:123], 2.0, -v[124:125]
	;; [unrolled: 1-line block ×3, first 2 shown]
	v_fma_f64 v[122:123], v[124:125], s[6:7], v[138:139]
	v_fma_f64 v[120:121], v[124:125], s[4:5], v[120:121]
	v_add_f64 v[32:33], v[80:81], -v[32:33]
	v_fma_f64 v[82:83], v[76:77], s[4:5], v[86:87]
	v_fma_f64 v[122:123], v[126:127], s[6:7], v[122:123]
	v_fma_f64 v[124:125], v[136:137], 2.0, -v[120:121]
	v_fma_f64 v[72:73], v[80:81], 2.0, -v[32:33]
	v_fma_f64 v[80:81], v[78:79], s[4:5], v[84:85]
	v_fma_f64 v[78:79], v[78:79], s[6:7], v[82:83]
	v_fma_f64 v[126:127], v[138:139], 2.0, -v[122:123]
	v_fma_f64 v[76:77], v[76:77], s[4:5], v[80:81]
	v_fma_f64 v[82:83], v[86:87], 2.0, -v[78:79]
	v_add_f64 v[86:87], v[134:135], v[116:117]
	v_fma_f64 v[80:81], v[84:85], 2.0, -v[76:77]
	v_add_f64 v[84:85], v[132:133], -v[118:119]
	v_fma_f64 v[118:119], v[134:135], 2.0, -v[86:87]
	v_fma_f64 v[116:117], v[132:133], 2.0, -v[84:85]
	v_mov_b32_e32 v132, 0x50
	v_cndmask_b32_e64 v132, 0, v132, s[2:3]
	v_or_b32_e32 v132, v132, v165
	v_lshlrev_b32_e32 v132, 4, v132
	v_add3_u32 v132, 0, v132, v163
	ds_write_b128 v132, v[44:47]
	ds_write_b128 v132, v[60:63] offset:160
	ds_write_b128 v132, v[64:67] offset:320
	ds_write_b128 v132, v[68:71] offset:480
	ds_write_b128 v132, v[40:43] offset:640
	ds_write_b128 v132, v[48:51] offset:800
	ds_write_b128 v132, v[52:55] offset:960
	ds_write_b128 v132, v[56:59] offset:1120
	v_mul_lo_u16_sdwa v40, v167, s10 dst_sel:DWORD dst_unused:UNUSED_PAD src0_sel:BYTE_1 src1_sel:DWORD
	v_or_b32_e32 v40, v40, v168
	v_lshlrev_b32_sdwa v40, v169, v40 dst_sel:DWORD dst_unused:UNUSED_PAD src0_sel:DWORD src1_sel:BYTE_0
	v_add3_u32 v40, 0, v40, v163
	ds_write_b128 v40, v[88:91]
	ds_write_b128 v40, v[96:99] offset:160
	ds_write_b128 v40, v[104:107] offset:320
	;; [unrolled: 1-line block ×7, first 2 shown]
	v_mul_u32_u24_sdwa v36, v171, s10 dst_sel:DWORD dst_unused:UNUSED_PAD src0_sel:BYTE_1 src1_sel:DWORD
	v_or_b32_sdwa v36, v36, v172 dst_sel:DWORD dst_unused:UNUSED_PAD src0_sel:DWORD src1_sel:BYTE_0
	v_lshlrev_b32_e32 v36, 4, v36
	v_add3_u32 v36, 0, v36, v163
	ds_write_b128 v36, v[72:75]
	ds_write_b128 v36, v[80:83] offset:160
	ds_write_b128 v36, v[116:119] offset:320
	;; [unrolled: 1-line block ×7, first 2 shown]
	s_and_saveexec_b64 s[2:3], vcc
	s_cbranch_execz .LBB0_21
; %bb.20:
	v_or_b32_e32 v32, 48, v128
	v_mul_lo_u16_e32 v60, 26, v32
	v_mul_lo_u16_sdwa v33, v60, v166 dst_sel:DWORD dst_unused:UNUSED_PAD src0_sel:BYTE_1 src1_sel:DWORD
	v_sub_u16_e32 v74, v32, v33
	v_mul_u32_u24_sdwa v32, v74, v170 dst_sel:DWORD dst_unused:UNUSED_PAD src0_sel:BYTE_0 src1_sel:DWORD
	v_lshlrev_b32_e32 v61, 4, v32
	global_load_dwordx4 v[32:35], v61, s[8:9] offset:48
	global_load_dwordx4 v[36:39], v61, s[8:9] offset:16
	;; [unrolled: 1-line block ×3, first 2 shown]
	global_load_dwordx4 v[44:47], v61, s[8:9]
	global_load_dwordx4 v[48:51], v61, s[8:9] offset:64
	global_load_dwordx4 v[52:55], v61, s[8:9] offset:32
	;; [unrolled: 1-line block ×3, first 2 shown]
	v_mul_u32_u24_sdwa v75, v60, s10 dst_sel:DWORD dst_unused:UNUSED_PAD src0_sel:BYTE_1 src1_sel:DWORD
	s_waitcnt vmcnt(6)
	v_mul_f64 v[60:61], v[12:13], v[34:35]
	s_waitcnt vmcnt(5)
	v_mul_f64 v[62:63], v[6:7], v[38:39]
	;; [unrolled: 2-line block ×7, first 2 shown]
	v_mul_f64 v[46:47], v[2:3], v[46:47]
	v_mul_f64 v[50:51], v[22:23], v[50:51]
	;; [unrolled: 1-line block ×7, first 2 shown]
	v_fma_f64 v[14:15], v[14:15], v[32:33], v[60:61]
	v_fma_f64 v[4:5], v[4:5], v[36:37], -v[62:63]
	v_fma_f64 v[24:25], v[24:25], v[40:41], -v[64:65]
	v_fma_f64 v[2:3], v[2:3], v[44:45], v[66:67]
	v_fma_f64 v[22:23], v[22:23], v[48:49], v[68:69]
	v_fma_f64 v[8:9], v[8:9], v[52:53], -v[70:71]
	v_fma_f64 v[28:29], v[28:29], v[56:57], -v[72:73]
	;; [unrolled: 1-line block ×4, first 2 shown]
	v_fma_f64 v[10:11], v[10:11], v[52:53], v[54:55]
	v_fma_f64 v[6:7], v[6:7], v[36:37], v[38:39]
	;; [unrolled: 1-line block ×4, first 2 shown]
	v_fma_f64 v[12:13], v[12:13], v[32:33], -v[34:35]
	v_add_f64 v[14:15], v[18:19], -v[14:15]
	v_add_f64 v[24:25], v[4:5], -v[24:25]
	;; [unrolled: 1-line block ×8, first 2 shown]
	v_or_b32_sdwa v32, v75, v74 dst_sel:DWORD dst_unused:UNUSED_PAD src0_sel:DWORD src1_sel:BYTE_0
	v_lshlrev_b32_e32 v44, 4, v32
	v_add_f64 v[32:33], v[14:15], v[24:25]
	v_add_f64 v[34:35], v[22:23], v[28:29]
	v_fma_f64 v[18:19], v[18:19], 2.0, -v[14:15]
	v_fma_f64 v[6:7], v[6:7], 2.0, -v[26:27]
	;; [unrolled: 1-line block ×8, first 2 shown]
	v_add_f64 v[24:25], v[20:21], -v[30:31]
	v_add_f64 v[26:27], v[12:13], -v[26:27]
	;; [unrolled: 1-line block ×3, first 2 shown]
	v_fma_f64 v[30:31], v[14:15], 2.0, -v[32:33]
	v_fma_f64 v[22:23], v[22:23], 2.0, -v[34:35]
	v_add_f64 v[6:7], v[0:1], -v[8:9]
	v_add_f64 v[8:9], v[2:3], -v[10:11]
	;; [unrolled: 1-line block ×3, first 2 shown]
	v_fma_f64 v[10:11], v[20:21], 2.0, -v[24:25]
	v_fma_f64 v[38:39], v[12:13], 2.0, -v[26:27]
	v_fma_f64 v[4:5], v[34:35], s[6:7], v[32:33]
	v_fma_f64 v[12:13], v[24:25], s[6:7], v[26:27]
	v_fma_f64 v[14:15], v[22:23], s[4:5], v[30:31]
	v_fma_f64 v[40:41], v[18:19], 2.0, -v[28:29]
	v_fma_f64 v[18:19], v[2:3], 2.0, -v[8:9]
	;; [unrolled: 1-line block ×4, first 2 shown]
	v_fma_f64 v[20:21], v[10:11], s[4:5], v[38:39]
	v_fma_f64 v[2:3], v[24:25], s[6:7], v[4:5]
	v_add_f64 v[6:7], v[28:29], v[6:7]
	v_add_f64 v[4:5], v[36:37], -v[8:9]
	v_fma_f64 v[0:1], v[34:35], s[4:5], v[12:13]
	v_fma_f64 v[10:11], v[10:11], s[6:7], v[14:15]
	v_add_f64 v[14:15], v[40:41], -v[18:19]
	v_add_f64 v[12:13], v[42:43], -v[16:17]
	v_fma_f64 v[8:9], v[22:23], s[4:5], v[20:21]
	v_fma_f64 v[18:19], v[32:33], 2.0, -v[2:3]
	v_fma_f64 v[22:23], v[28:29], 2.0, -v[6:7]
	;; [unrolled: 1-line block ×8, first 2 shown]
	v_add3_u32 v32, 0, v44, v163
	ds_write_b128 v32, v[4:7] offset:960
	ds_write_b128 v32, v[20:23] offset:320
	;; [unrolled: 1-line block ×5, first 2 shown]
	ds_write_b128 v32, v[28:31]
	ds_write_b128 v32, v[24:27] offset:160
	ds_write_b128 v32, v[0:3] offset:1120
.LBB0_21:
	s_or_b64 exec, exec, s[2:3]
	v_mul_u32_u24_e32 v0, 5, v128
	v_lshlrev_b32_e32 v127, 4, v0
	s_waitcnt lgkmcnt(0)
	; wave barrier
	s_waitcnt lgkmcnt(0)
	global_load_dwordx4 v[19:22], v127, s[8:9] offset:1120
	global_load_dwordx4 v[23:26], v127, s[8:9] offset:1136
	;; [unrolled: 1-line block ×8, first 2 shown]
	ds_read_b128 v[51:54], v162
	ds_read_b128 v[12:15], v129 offset:256
	ds_read_b128 v[55:58], v129 offset:2560
	;; [unrolled: 1-line block ×7, first 2 shown]
	global_load_dwordx4 v[79:82], v127, s[8:9] offset:2448
	ds_read_b128 v[83:86], v129 offset:4096
	ds_read_b128 v[87:90], v129 offset:4352
	global_load_dwordx4 v[91:94], v127, s[8:9] offset:2464
	ds_read_b128 v[95:98], v129 offset:6656
	ds_read_b128 v[99:102], v129 offset:6912
	global_load_dwordx4 v[103:106], v127, s[8:9] offset:3696
	global_load_dwordx4 v[107:110], v127, s[8:9] offset:3680
	ds_read_b128 v[8:11], v129 offset:512
	ds_read_b128 v[4:7], v129 offset:768
	;; [unrolled: 1-line block ×6, first 2 shown]
	global_load_dwordx4 v[132:135], v127, s[8:9] offset:3728
	global_load_dwordx4 v[136:139], v127, s[8:9] offset:3712
	;; [unrolled: 1-line block ×3, first 2 shown]
	v_mov_b32_e32 v0, s9
	v_add_co_u32_e32 v1, vcc, s8, v127
	s_movk_i32 s2, 0x500
	v_addc_co_u32_e32 v0, vcc, 0, v0, vcc
	v_add_co_u32_e32 v16, vcc, s2, v1
	v_addc_co_u32_e32 v17, vcc, 0, v0, vcc
	global_load_dwordx4 v[144:147], v[16:17], off offset:3680
	ds_read_b128 v[148:151], v129 offset:1280
	ds_read_b128 v[0:3], v129 offset:1024
	global_load_dwordx4 v[152:155], v[16:17], off offset:3712
	global_load_dwordx4 v[156:159], v[16:17], off offset:3696
	v_lshl_add_u32 v18, v161, 4, v164
	ds_read_b128 v[161:164], v129 offset:2048
	ds_read_b128 v[165:168], v129 offset:2304
	;; [unrolled: 1-line block ×6, first 2 shown]
	global_load_dwordx4 v[185:188], v[16:17], off offset:3728
	ds_read_b128 v[189:192], v129 offset:6400
	ds_read_b128 v[193:196], v129 offset:6144
	global_load_dwordx4 v[197:200], v[16:17], off offset:3744
	v_add_u32_e32 v16, 0x1400, v127
	ds_read_b128 v[201:204], v129 offset:7168
	ds_read_b128 v[205:208], v129 offset:7424
	global_load_dwordx4 v[209:212], v16, s[8:9] offset:1136
	global_load_dwordx4 v[213:216], v16, s[8:9] offset:1120
	;; [unrolled: 1-line block ×5, first 2 shown]
	s_mov_b32 s2, 0xe8584caa
	s_mov_b32 s3, 0x3febb67a
	;; [unrolled: 1-line block ×4, first 2 shown]
	s_waitcnt lgkmcnt(0)
	; wave barrier
	s_waitcnt vmcnt(24) lgkmcnt(0)
	v_mul_f64 v[16:17], v[150:151], v[21:22]
	v_mul_f64 v[21:22], v[148:149], v[21:22]
	s_waitcnt vmcnt(23)
	v_mul_f64 v[229:230], v[57:58], v[25:26]
	v_mul_f64 v[25:26], v[55:56], v[25:26]
	s_waitcnt vmcnt(22)
	;; [unrolled: 3-line block ×5, first 2 shown]
	v_mul_f64 v[237:238], v[73:74], v[41:42]
	v_mul_f64 v[41:42], v[71:72], v[41:42]
	v_fma_f64 v[148:149], v[148:149], v[19:20], -v[16:17]
	v_fma_f64 v[19:20], v[150:151], v[19:20], v[21:22]
	v_fma_f64 v[21:22], v[55:56], v[23:24], -v[229:230]
	v_fma_f64 v[23:24], v[57:58], v[23:24], v[25:26]
	;; [unrolled: 2-line block ×4, first 2 shown]
	s_waitcnt vmcnt(17)
	v_mul_f64 v[16:17], v[61:62], v[49:50]
	v_fma_f64 v[33:34], v[189:190], v[35:36], -v[235:236]
	v_fma_f64 v[35:36], v[191:192], v[35:36], v[37:38]
	v_mul_f64 v[37:38], v[85:86], v[45:46]
	v_fma_f64 v[55:56], v[71:72], v[39:40], -v[237:238]
	v_fma_f64 v[41:42], v[73:74], v[39:40], v[41:42]
	v_mul_f64 v[39:40], v[83:84], v[45:46]
	v_mul_f64 v[49:50], v[59:60], v[49:50]
	v_fma_f64 v[45:46], v[59:60], v[47:48], -v[16:17]
	s_waitcnt vmcnt(16)
	v_mul_f64 v[16:17], v[69:70], v[81:82]
	s_waitcnt vmcnt(15)
	v_mul_f64 v[59:60], v[95:96], v[93:94]
	v_fma_f64 v[57:58], v[83:84], v[43:44], -v[37:38]
	v_mul_f64 v[37:38], v[97:98], v[93:94]
	s_waitcnt vmcnt(14)
	v_mul_f64 v[63:64], v[113:114], v[105:106]
	v_fma_f64 v[43:44], v[85:86], v[43:44], v[39:40]
	s_waitcnt vmcnt(13)
	v_mul_f64 v[39:40], v[77:78], v[109:110]
	v_fma_f64 v[47:48], v[61:62], v[47:48], v[49:50]
	v_mul_f64 v[49:50], v[67:68], v[81:82]
	v_fma_f64 v[61:62], v[67:68], v[79:80], -v[16:17]
	v_mul_f64 v[16:17], v[75:76], v[109:110]
	v_fma_f64 v[65:66], v[95:96], v[91:92], -v[37:38]
	;; [unrolled: 2-line block ×3, first 2 shown]
	v_fma_f64 v[67:68], v[75:76], v[107:108], -v[39:40]
	s_waitcnt vmcnt(11)
	v_mul_f64 v[39:40], v[89:90], v[138:139]
	v_fma_f64 v[49:50], v[69:70], v[79:80], v[49:50]
	v_fma_f64 v[59:60], v[97:98], v[91:92], v[59:60]
	v_fma_f64 v[69:70], v[77:78], v[107:108], v[16:17]
	v_mul_f64 v[16:17], v[87:88], v[138:139]
	v_fma_f64 v[75:76], v[113:114], v[103:104], v[37:38]
	s_waitcnt vmcnt(10)
	v_mul_f64 v[37:38], v[101:102], v[142:143]
	v_mul_f64 v[73:74], v[119:120], v[134:135]
	v_fma_f64 v[77:78], v[87:88], v[136:137], -v[39:40]
	v_mul_f64 v[39:40], v[99:100], v[142:143]
	s_waitcnt vmcnt(6)
	v_mul_f64 v[91:92], v[125:126], v[187:188]
	v_mul_f64 v[71:72], v[121:122], v[134:135]
	v_fma_f64 v[79:80], v[89:90], v[136:137], v[16:17]
	v_mul_f64 v[16:17], v[163:164], v[146:147]
	v_fma_f64 v[83:84], v[99:100], v[140:141], -v[37:38]
	v_mul_f64 v[37:38], v[117:118], v[158:159]
	s_waitcnt vmcnt(3)
	v_mul_f64 v[99:100], v[167:168], v[215:216]
	v_fma_f64 v[85:86], v[101:102], v[140:141], v[39:40]
	v_mul_f64 v[39:40], v[115:116], v[158:159]
	v_fma_f64 v[73:74], v[121:122], v[132:133], v[73:74]
	v_fma_f64 v[91:92], v[123:124], v[185:186], -v[91:92]
	v_fma_f64 v[87:88], v[161:162], v[144:145], -v[16:17]
	v_mul_f64 v[16:17], v[179:180], v[154:155]
	v_fma_f64 v[93:94], v[115:116], v[156:157], -v[37:38]
	v_mul_f64 v[37:38], v[123:124], v[187:188]
	v_fma_f64 v[111:112], v[165:166], v[213:214], -v[99:100]
	v_fma_f64 v[95:96], v[117:118], v[156:157], v[39:40]
	v_mul_f64 v[39:40], v[203:204], v[199:200]
	s_waitcnt vmcnt(1)
	v_mul_f64 v[99:100], v[181:182], v[223:224]
	v_add_f64 v[121:122], v[25:26], v[33:34]
	v_fma_f64 v[97:98], v[177:178], v[152:153], -v[16:17]
	v_mul_f64 v[16:17], v[201:202], v[199:200]
	v_fma_f64 v[101:102], v[125:126], v[185:186], v[37:38]
	v_mul_f64 v[37:38], v[165:166], v[215:216]
	v_fma_f64 v[71:72], v[119:120], v[132:133], -v[71:72]
	v_fma_f64 v[103:104], v[201:202], v[197:198], -v[39:40]
	v_mul_f64 v[39:40], v[175:176], v[211:212]
	v_fma_f64 v[117:118], v[183:184], v[221:222], v[99:100]
	v_add_f64 v[99:100], v[21:22], v[29:30]
	v_fma_f64 v[107:108], v[203:204], v[197:198], v[16:17]
	v_fma_f64 v[121:122], v[121:122], -0.5, v[148:149]
	v_fma_f64 v[16:17], v[167:168], v[213:214], v[37:38]
	v_mul_f64 v[37:38], v[195:196], v[219:220]
	v_add_f64 v[132:133], v[27:28], -v[35:36]
	v_fma_f64 v[113:114], v[173:174], v[209:210], -v[39:40]
	v_mul_f64 v[39:40], v[193:194], v[219:220]
	v_add_f64 v[134:135], v[25:26], -v[33:34]
	v_add_f64 v[138:139], v[23:24], v[31:32]
	v_mul_f64 v[81:82], v[161:162], v[146:147]
	v_add_f64 v[25:26], v[148:149], v[25:26]
	v_fma_f64 v[119:120], v[193:194], v[217:218], -v[37:38]
	v_add_f64 v[37:38], v[51:52], v[21:22]
	v_fma_f64 v[51:52], v[99:100], -0.5, v[51:52]
	v_fma_f64 v[123:124], v[195:196], v[217:218], v[39:40]
	v_add_f64 v[39:40], v[27:28], v[35:36]
	v_add_f64 v[99:100], v[23:24], -v[31:32]
	v_fma_f64 v[140:141], v[132:133], s[4:5], v[121:122]
	v_add_f64 v[23:24], v[53:54], v[23:24]
	v_fma_f64 v[121:122], v[132:133], s[2:3], v[121:122]
	v_add_f64 v[37:38], v[37:38], v[29:30]
	v_add_f64 v[21:22], v[21:22], -v[29:30]
	v_fma_f64 v[81:82], v[163:164], v[144:145], v[81:82]
	v_fma_f64 v[39:40], v[39:40], -0.5, v[19:20]
	v_fma_f64 v[136:137], v[99:100], s[2:3], v[51:52]
	v_fma_f64 v[51:52], v[99:100], s[4:5], v[51:52]
	v_mul_f64 v[132:133], v[140:141], -0.5
	v_fma_f64 v[53:54], v[138:139], -0.5, v[53:54]
	v_add_f64 v[19:20], v[19:20], v[27:28]
	v_mul_f64 v[27:28], v[121:122], s[4:5]
	v_add_f64 v[142:143], v[57:58], v[65:66]
	v_fma_f64 v[99:100], v[134:135], s[4:5], v[39:40]
	v_fma_f64 v[39:40], v[134:135], s[2:3], v[39:40]
	v_add_f64 v[134:135], v[23:24], v[31:32]
	v_add_f64 v[31:32], v[25:26], v[33:34]
	;; [unrolled: 1-line block ×3, first 2 shown]
	v_fma_f64 v[138:139], v[21:22], s[4:5], v[53:54]
	v_add_f64 v[146:147], v[43:44], -v[59:60]
	v_fma_f64 v[53:54], v[21:22], s[2:3], v[53:54]
	v_mul_f64 v[29:30], v[99:100], s[2:3]
	v_mul_f64 v[23:24], v[39:40], -0.5
	v_fma_f64 v[39:40], v[39:40], s[2:3], v[132:133]
	v_fma_f64 v[99:100], v[99:100], 0.5, v[27:28]
	v_mul_f64 v[89:90], v[177:178], v[154:155]
	v_mul_f64 v[109:110], v[183:184], v[223:224]
	s_waitcnt vmcnt(0)
	v_mul_f64 v[115:116], v[207:208], v[227:228]
	v_mul_f64 v[125:126], v[205:206], v[227:228]
	v_fma_f64 v[33:34], v[121:122], 0.5, v[29:30]
	v_fma_f64 v[132:133], v[140:141], s[4:5], v[23:24]
	v_add_f64 v[140:141], v[45:46], v[61:62]
	v_add_f64 v[121:122], v[19:20], v[35:36]
	;; [unrolled: 1-line block ×3, first 2 shown]
	v_add_f64 v[39:40], v[51:52], -v[39:40]
	v_add_f64 v[51:52], v[12:13], v[45:46]
	v_add_f64 v[19:20], v[37:38], v[31:32]
	;; [unrolled: 1-line block ×3, first 2 shown]
	v_add_f64 v[35:36], v[136:137], -v[33:34]
	v_fma_f64 v[12:13], v[140:141], -0.5, v[12:13]
	v_add_f64 v[136:137], v[47:48], -v[49:50]
	v_fma_f64 v[140:141], v[142:143], -0.5, v[55:56]
	v_fma_f64 v[142:143], v[144:145], -0.5, v[41:42]
	v_add_f64 v[144:145], v[57:58], -v[65:66]
	v_add_f64 v[21:22], v[134:135], v[121:122]
	v_add_f64 v[25:26], v[138:139], v[99:100]
	v_add_f64 v[31:32], v[37:38], -v[31:32]
	v_add_f64 v[33:34], v[134:135], -v[121:122]
	;; [unrolled: 1-line block ×3, first 2 shown]
	v_add_f64 v[99:100], v[47:48], v[49:50]
	v_fma_f64 v[121:122], v[136:137], s[2:3], v[12:13]
	v_fma_f64 v[134:135], v[136:137], s[4:5], v[12:13]
	;; [unrolled: 1-line block ×4, first 2 shown]
	v_add_f64 v[51:52], v[51:52], v[61:62]
	v_add_f64 v[47:48], v[14:15], v[47:48]
	v_fma_f64 v[138:139], v[146:147], s[2:3], v[140:141]
	v_fma_f64 v[14:15], v[99:100], -0.5, v[14:15]
	v_fma_f64 v[99:100], v[144:145], s[2:3], v[142:143]
	v_add_f64 v[45:46], v[45:46], -v[61:62]
	v_add_f64 v[55:56], v[55:56], v[57:58]
	v_mul_f64 v[57:58], v[12:13], s[2:3]
	v_mul_f64 v[61:62], v[136:137], -0.5
	v_add_f64 v[41:42], v[41:42], v[43:44]
	v_add_f64 v[29:30], v[53:54], v[132:133]
	v_mul_f64 v[43:44], v[138:139], s[4:5]
	v_add_f64 v[140:141], v[47:48], v[49:50]
	v_mul_f64 v[47:48], v[99:100], -0.5
	v_add_f64 v[55:56], v[55:56], v[65:66]
	v_fma_f64 v[57:58], v[138:139], 0.5, v[57:58]
	v_fma_f64 v[61:62], v[99:100], s[2:3], v[61:62]
	v_add_f64 v[65:66], v[41:42], v[59:60]
	v_add_f64 v[41:42], v[53:54], -v[132:133]
	v_add_f64 v[53:54], v[63:64], v[71:72]
	v_add_f64 v[132:133], v[77:78], v[83:84]
	;; [unrolled: 1-line block ×3, first 2 shown]
	v_fma_f64 v[142:143], v[45:46], s[4:5], v[14:15]
	v_fma_f64 v[99:100], v[12:13], 0.5, v[43:44]
	v_fma_f64 v[138:139], v[45:46], s[2:3], v[14:15]
	v_fma_f64 v[136:137], v[136:137], s[4:5], v[47:48]
	v_add_f64 v[12:13], v[51:52], v[55:56]
	v_add_f64 v[43:44], v[121:122], v[57:58]
	;; [unrolled: 1-line block ×4, first 2 shown]
	v_add_f64 v[51:52], v[51:52], -v[55:56]
	v_add_f64 v[55:56], v[121:122], -v[57:58]
	;; [unrolled: 1-line block ×3, first 2 shown]
	v_add_f64 v[61:62], v[8:9], v[63:64]
	v_fma_f64 v[8:9], v[53:54], -0.5, v[8:9]
	v_add_f64 v[121:122], v[75:76], -v[73:74]
	v_fma_f64 v[132:133], v[132:133], -0.5, v[67:68]
	v_fma_f64 v[134:135], v[144:145], -0.5, v[69:70]
	v_add_f64 v[144:145], v[77:78], -v[83:84]
	v_add_f64 v[146:147], v[79:80], -v[85:86]
	;; [unrolled: 1-line block ×3, first 2 shown]
	v_add_f64 v[65:66], v[75:76], v[73:74]
	v_add_f64 v[45:46], v[142:143], v[99:100]
	v_add_f64 v[57:58], v[142:143], -v[99:100]
	v_add_f64 v[99:100], v[61:62], v[71:72]
	v_fma_f64 v[140:141], v[121:122], s[2:3], v[8:9]
	v_fma_f64 v[121:122], v[121:122], s[4:5], v[8:9]
	;; [unrolled: 1-line block ×4, first 2 shown]
	v_add_f64 v[75:76], v[10:11], v[75:76]
	v_fma_f64 v[10:11], v[65:66], -0.5, v[10:11]
	v_fma_f64 v[65:66], v[144:145], s[2:3], v[134:135]
	v_fma_f64 v[89:90], v[179:180], v[152:153], v[89:90]
	;; [unrolled: 1-line block ×3, first 2 shown]
	v_add_f64 v[63:64], v[63:64], -v[71:72]
	v_add_f64 v[67:68], v[67:68], v[77:78]
	v_mul_f64 v[71:72], v[8:9], s[2:3]
	v_mul_f64 v[77:78], v[61:62], -0.5
	v_add_f64 v[73:74], v[75:76], v[73:74]
	v_mul_f64 v[75:76], v[65:66], -0.5
	v_add_f64 v[49:50], v[138:139], v[136:137]
	v_add_f64 v[69:70], v[69:70], v[79:80]
	v_mul_f64 v[79:80], v[132:133], s[4:5]
	v_add_f64 v[83:84], v[67:68], v[83:84]
	v_fma_f64 v[132:133], v[132:133], 0.5, v[71:72]
	v_fma_f64 v[77:78], v[65:66], s[2:3], v[77:78]
	v_add_f64 v[148:149], v[89:90], v[107:108]
	v_fma_f64 v[146:147], v[61:62], s[4:5], v[75:76]
	v_add_f64 v[61:62], v[138:139], -v[136:137]
	v_add_f64 v[136:137], v[93:94], v[91:92]
	v_add_f64 v[138:139], v[97:98], v[103:104]
	v_fma_f64 v[134:135], v[63:64], s[4:5], v[10:11]
	v_add_f64 v[85:86], v[69:70], v[85:86]
	v_fma_f64 v[142:143], v[8:9], 0.5, v[79:80]
	v_fma_f64 v[144:145], v[63:64], s[2:3], v[10:11]
	v_add_f64 v[8:9], v[99:100], v[83:84]
	v_add_f64 v[63:64], v[140:141], v[132:133]
	;; [unrolled: 1-line block ×3, first 2 shown]
	v_add_f64 v[71:72], v[99:100], -v[83:84]
	v_add_f64 v[75:76], v[140:141], -v[132:133]
	;; [unrolled: 1-line block ×3, first 2 shown]
	v_add_f64 v[83:84], v[4:5], v[93:94]
	v_fma_f64 v[4:5], v[136:137], -0.5, v[4:5]
	v_add_f64 v[99:100], v[95:96], -v[101:102]
	v_fma_f64 v[121:122], v[138:139], -0.5, v[87:88]
	v_fma_f64 v[132:133], v[148:149], -0.5, v[81:82]
	v_add_f64 v[136:137], v[97:98], -v[103:104]
	v_add_f64 v[138:139], v[89:90], -v[107:108]
	v_add_f64 v[10:11], v[73:74], v[85:86]
	v_add_f64 v[65:66], v[134:135], v[142:143]
	v_add_f64 v[73:74], v[73:74], -v[85:86]
	v_add_f64 v[77:78], v[134:135], -v[142:143]
	v_add_f64 v[85:86], v[95:96], v[101:102]
	v_add_f64 v[134:135], v[83:84], v[91:92]
	v_fma_f64 v[140:141], v[99:100], s[2:3], v[4:5]
	v_fma_f64 v[99:100], v[99:100], s[4:5], v[4:5]
	;; [unrolled: 1-line block ×4, first 2 shown]
	v_mul_f64 v[105:106], v[173:174], v[211:212]
	v_fma_f64 v[109:110], v[181:182], v[221:222], -v[109:110]
	v_fma_f64 v[115:116], v[205:206], v[225:226], -v[115:116]
	v_fma_f64 v[125:126], v[207:208], v[225:226], v[125:126]
	v_add_f64 v[95:96], v[6:7], v[95:96]
	v_fma_f64 v[121:122], v[138:139], s[2:3], v[121:122]
	v_fma_f64 v[6:7], v[85:86], -0.5, v[6:7]
	v_fma_f64 v[85:86], v[136:137], s[2:3], v[132:133]
	v_add_f64 v[91:92], v[93:94], -v[91:92]
	v_add_f64 v[87:88], v[87:88], v[97:98]
	v_mul_f64 v[93:94], v[4:5], s[2:3]
	v_mul_f64 v[97:98], v[83:84], -0.5
	v_add_f64 v[81:82], v[81:82], v[89:90]
	v_fma_f64 v[105:106], v[175:176], v[209:210], v[105:106]
	v_add_f64 v[69:70], v[144:145], v[146:147]
	v_mul_f64 v[89:90], v[121:122], s[4:5]
	v_add_f64 v[101:102], v[95:96], v[101:102]
	v_mul_f64 v[95:96], v[85:86], -0.5
	v_add_f64 v[103:104], v[87:88], v[103:104]
	v_fma_f64 v[93:94], v[121:122], 0.5, v[93:94]
	v_fma_f64 v[97:98], v[85:86], s[2:3], v[97:98]
	v_add_f64 v[107:108], v[81:82], v[107:108]
	v_add_f64 v[81:82], v[144:145], -v[146:147]
	v_add_f64 v[142:143], v[113:114], v[119:120]
	v_add_f64 v[144:145], v[109:110], v[115:116]
	;; [unrolled: 1-line block ×3, first 2 shown]
	v_fma_f64 v[132:133], v[91:92], s[4:5], v[6:7]
	v_fma_f64 v[121:122], v[4:5], 0.5, v[89:90]
	v_fma_f64 v[136:137], v[91:92], s[2:3], v[6:7]
	v_fma_f64 v[138:139], v[83:84], s[4:5], v[95:96]
	v_add_f64 v[4:5], v[134:135], v[103:104]
	v_add_f64 v[83:84], v[140:141], v[93:94]
	;; [unrolled: 1-line block ×3, first 2 shown]
	v_add_f64 v[91:92], v[134:135], -v[103:104]
	v_add_f64 v[95:96], v[140:141], -v[93:94]
	;; [unrolled: 1-line block ×3, first 2 shown]
	v_add_f64 v[97:98], v[0:1], v[113:114]
	v_fma_f64 v[0:1], v[142:143], -0.5, v[0:1]
	v_add_f64 v[103:104], v[105:106], -v[123:124]
	v_fma_f64 v[134:135], v[144:145], -0.5, v[111:112]
	v_fma_f64 v[140:141], v[146:147], -0.5, v[16:17]
	v_add_f64 v[142:143], v[109:110], -v[115:116]
	v_add_f64 v[144:145], v[117:118], -v[125:126]
	v_add_f64 v[6:7], v[101:102], v[107:108]
	v_add_f64 v[146:147], v[105:106], v[123:124]
	v_add_f64 v[93:94], v[101:102], -v[107:108]
	v_add_f64 v[148:149], v[97:98], v[119:120]
	v_fma_f64 v[150:151], v[103:104], s[2:3], v[0:1]
	v_add_f64 v[97:98], v[2:3], v[105:106]
	v_fma_f64 v[152:153], v[103:104], s[4:5], v[0:1]
	v_fma_f64 v[0:1], v[142:143], s[4:5], v[140:141]
	;; [unrolled: 1-line block ×5, first 2 shown]
	v_fma_f64 v[2:3], v[146:147], -0.5, v[2:3]
	v_add_f64 v[107:108], v[113:114], -v[119:120]
	v_add_f64 v[113:114], v[97:98], v[123:124]
	v_add_f64 v[97:98], v[111:112], v[109:110]
	v_mul_f64 v[109:110], v[0:1], s[2:3]
	v_mul_f64 v[111:112], v[101:102], -0.5
	v_add_f64 v[16:17], v[16:17], v[117:118]
	v_mul_f64 v[117:118], v[103:104], s[4:5]
	v_mul_f64 v[119:120], v[105:106], -0.5
	v_fma_f64 v[123:124], v[107:108], s[4:5], v[2:3]
	v_fma_f64 v[134:135], v[107:108], s[2:3], v[2:3]
	v_add_f64 v[115:116], v[97:98], v[115:116]
	v_fma_f64 v[140:141], v[103:104], 0.5, v[109:110]
	v_fma_f64 v[142:143], v[105:106], s[2:3], v[111:112]
	v_add_f64 v[16:17], v[16:17], v[125:126]
	v_fma_f64 v[117:118], v[0:1], 0.5, v[117:118]
	v_fma_f64 v[125:126], v[101:102], s[4:5], v[119:120]
	v_add_f64 v[85:86], v[132:133], v[121:122]
	v_add_f64 v[89:90], v[136:137], v[138:139]
	v_add_f64 v[97:98], v[132:133], -v[121:122]
	v_add_f64 v[101:102], v[136:137], -v[138:139]
	v_add_f64 v[0:1], v[148:149], v[115:116]
	v_add_f64 v[103:104], v[150:151], v[140:141]
	;; [unrolled: 1-line block ×6, first 2 shown]
	v_add_f64 v[111:112], v[148:149], -v[115:116]
	v_add_f64 v[115:116], v[150:151], -v[140:141]
	v_add_f64 v[119:120], v[152:153], -v[142:143]
	v_add_f64 v[113:114], v[113:114], -v[16:17]
	v_add_f64 v[117:118], v[123:124], -v[117:118]
	v_add_f64 v[121:122], v[134:135], -v[125:126]
	ds_write_b128 v129, v[19:22]
	ds_write_b128 v129, v[23:26] offset:1280
	ds_write_b128 v129, v[27:30] offset:2560
	;; [unrolled: 1-line block ×29, first 2 shown]
	s_waitcnt lgkmcnt(0)
	; wave barrier
	s_waitcnt lgkmcnt(0)
	s_and_saveexec_b64 s[2:3], s[0:1]
	s_cbranch_execz .LBB0_23
; %bb.22:
	v_lshl_add_u32 v10, v128, 4, v160
	v_mov_b32_e32 v129, 0
	ds_read_b128 v[0:3], v10
	v_mov_b32_e32 v4, s13
	v_add_co_u32_e32 v11, vcc, s12, v130
	v_addc_co_u32_e32 v12, vcc, v4, v131, vcc
	v_lshlrev_b64 v[4:5], 4, v[128:129]
	v_add_co_u32_e32 v8, vcc, v11, v4
	v_addc_co_u32_e32 v9, vcc, v12, v5, vcc
	ds_read_b128 v[4:7], v10 offset:256
	s_waitcnt lgkmcnt(1)
	global_store_dwordx4 v[8:9], v[0:3], off
	s_nop 0
	v_add_u32_e32 v0, 16, v128
	v_mov_b32_e32 v1, v129
	v_lshlrev_b64 v[0:1], 4, v[0:1]
	v_add_co_u32_e32 v0, vcc, v11, v0
	v_addc_co_u32_e32 v1, vcc, v12, v1, vcc
	s_waitcnt lgkmcnt(0)
	global_store_dwordx4 v[0:1], v[4:7], off
	ds_read_b128 v[0:3], v10 offset:512
	v_add_u32_e32 v4, 32, v128
	v_mov_b32_e32 v5, v129
	v_lshlrev_b64 v[4:5], 4, v[4:5]
	v_add_co_u32_e32 v8, vcc, v11, v4
	v_addc_co_u32_e32 v9, vcc, v12, v5, vcc
	ds_read_b128 v[4:7], v10 offset:768
	s_waitcnt lgkmcnt(1)
	global_store_dwordx4 v[8:9], v[0:3], off
	s_nop 0
	v_add_u32_e32 v0, 48, v128
	v_mov_b32_e32 v1, v129
	v_lshlrev_b64 v[0:1], 4, v[0:1]
	v_add_co_u32_e32 v0, vcc, v11, v0
	v_addc_co_u32_e32 v1, vcc, v12, v1, vcc
	s_waitcnt lgkmcnt(0)
	global_store_dwordx4 v[0:1], v[4:7], off
	ds_read_b128 v[0:3], v10 offset:1024
	v_add_u32_e32 v4, 64, v128
	v_mov_b32_e32 v5, v129
	;; [unrolled: 17-line block ×14, first 2 shown]
	v_lshlrev_b64 v[4:5], 4, v[4:5]
	v_add_u32_e32 v128, 0x1d0, v128
	v_add_co_u32_e32 v8, vcc, v11, v4
	v_addc_co_u32_e32 v9, vcc, v12, v5, vcc
	ds_read_b128 v[4:7], v10 offset:7424
	s_waitcnt lgkmcnt(1)
	global_store_dwordx4 v[8:9], v[0:3], off
	s_nop 0
	v_lshlrev_b64 v[0:1], 4, v[128:129]
	v_add_co_u32_e32 v0, vcc, v11, v0
	v_addc_co_u32_e32 v1, vcc, v12, v1, vcc
	s_waitcnt lgkmcnt(0)
	global_store_dwordx4 v[0:1], v[4:7], off
.LBB0_23:
	s_endpgm
	.section	.rodata,"a",@progbits
	.p2align	6, 0x0
	.amdhsa_kernel fft_rtc_fwd_len480_factors_10_8_6_wgs_64_tpt_16_halfLds_dp_ip_CI_unitstride_sbrr_C2R_dirReg
		.amdhsa_group_segment_fixed_size 0
		.amdhsa_private_segment_fixed_size 0
		.amdhsa_kernarg_size 88
		.amdhsa_user_sgpr_count 6
		.amdhsa_user_sgpr_private_segment_buffer 1
		.amdhsa_user_sgpr_dispatch_ptr 0
		.amdhsa_user_sgpr_queue_ptr 0
		.amdhsa_user_sgpr_kernarg_segment_ptr 1
		.amdhsa_user_sgpr_dispatch_id 0
		.amdhsa_user_sgpr_flat_scratch_init 0
		.amdhsa_user_sgpr_private_segment_size 0
		.amdhsa_uses_dynamic_stack 0
		.amdhsa_system_sgpr_private_segment_wavefront_offset 0
		.amdhsa_system_sgpr_workgroup_id_x 1
		.amdhsa_system_sgpr_workgroup_id_y 0
		.amdhsa_system_sgpr_workgroup_id_z 0
		.amdhsa_system_sgpr_workgroup_info 0
		.amdhsa_system_vgpr_workitem_id 0
		.amdhsa_next_free_vgpr 239
		.amdhsa_next_free_sgpr 22
		.amdhsa_reserve_vcc 1
		.amdhsa_reserve_flat_scratch 0
		.amdhsa_float_round_mode_32 0
		.amdhsa_float_round_mode_16_64 0
		.amdhsa_float_denorm_mode_32 3
		.amdhsa_float_denorm_mode_16_64 3
		.amdhsa_dx10_clamp 1
		.amdhsa_ieee_mode 1
		.amdhsa_fp16_overflow 0
		.amdhsa_exception_fp_ieee_invalid_op 0
		.amdhsa_exception_fp_denorm_src 0
		.amdhsa_exception_fp_ieee_div_zero 0
		.amdhsa_exception_fp_ieee_overflow 0
		.amdhsa_exception_fp_ieee_underflow 0
		.amdhsa_exception_fp_ieee_inexact 0
		.amdhsa_exception_int_div_zero 0
	.end_amdhsa_kernel
	.text
.Lfunc_end0:
	.size	fft_rtc_fwd_len480_factors_10_8_6_wgs_64_tpt_16_halfLds_dp_ip_CI_unitstride_sbrr_C2R_dirReg, .Lfunc_end0-fft_rtc_fwd_len480_factors_10_8_6_wgs_64_tpt_16_halfLds_dp_ip_CI_unitstride_sbrr_C2R_dirReg
                                        ; -- End function
	.section	.AMDGPU.csdata,"",@progbits
; Kernel info:
; codeLenInByte = 17392
; NumSgprs: 26
; NumVgprs: 239
; ScratchSize: 0
; MemoryBound: 0
; FloatMode: 240
; IeeeMode: 1
; LDSByteSize: 0 bytes/workgroup (compile time only)
; SGPRBlocks: 3
; VGPRBlocks: 59
; NumSGPRsForWavesPerEU: 26
; NumVGPRsForWavesPerEU: 239
; Occupancy: 1
; WaveLimiterHint : 1
; COMPUTE_PGM_RSRC2:SCRATCH_EN: 0
; COMPUTE_PGM_RSRC2:USER_SGPR: 6
; COMPUTE_PGM_RSRC2:TRAP_HANDLER: 0
; COMPUTE_PGM_RSRC2:TGID_X_EN: 1
; COMPUTE_PGM_RSRC2:TGID_Y_EN: 0
; COMPUTE_PGM_RSRC2:TGID_Z_EN: 0
; COMPUTE_PGM_RSRC2:TIDIG_COMP_CNT: 0
	.type	__hip_cuid_79355c31e8e97384,@object ; @__hip_cuid_79355c31e8e97384
	.section	.bss,"aw",@nobits
	.globl	__hip_cuid_79355c31e8e97384
__hip_cuid_79355c31e8e97384:
	.byte	0                               ; 0x0
	.size	__hip_cuid_79355c31e8e97384, 1

	.ident	"AMD clang version 19.0.0git (https://github.com/RadeonOpenCompute/llvm-project roc-6.4.0 25133 c7fe45cf4b819c5991fe208aaa96edf142730f1d)"
	.section	".note.GNU-stack","",@progbits
	.addrsig
	.addrsig_sym __hip_cuid_79355c31e8e97384
	.amdgpu_metadata
---
amdhsa.kernels:
  - .args:
      - .actual_access:  read_only
        .address_space:  global
        .offset:         0
        .size:           8
        .value_kind:     global_buffer
      - .offset:         8
        .size:           8
        .value_kind:     by_value
      - .actual_access:  read_only
        .address_space:  global
        .offset:         16
        .size:           8
        .value_kind:     global_buffer
      - .actual_access:  read_only
        .address_space:  global
        .offset:         24
        .size:           8
        .value_kind:     global_buffer
      - .offset:         32
        .size:           8
        .value_kind:     by_value
      - .actual_access:  read_only
        .address_space:  global
        .offset:         40
        .size:           8
        .value_kind:     global_buffer
      - .actual_access:  read_only
        .address_space:  global
        .offset:         48
        .size:           8
        .value_kind:     global_buffer
      - .offset:         56
        .size:           4
        .value_kind:     by_value
      - .actual_access:  read_only
        .address_space:  global
        .offset:         64
        .size:           8
        .value_kind:     global_buffer
      - .actual_access:  read_only
        .address_space:  global
        .offset:         72
        .size:           8
        .value_kind:     global_buffer
      - .address_space:  global
        .offset:         80
        .size:           8
        .value_kind:     global_buffer
    .group_segment_fixed_size: 0
    .kernarg_segment_align: 8
    .kernarg_segment_size: 88
    .language:       OpenCL C
    .language_version:
      - 2
      - 0
    .max_flat_workgroup_size: 64
    .name:           fft_rtc_fwd_len480_factors_10_8_6_wgs_64_tpt_16_halfLds_dp_ip_CI_unitstride_sbrr_C2R_dirReg
    .private_segment_fixed_size: 0
    .sgpr_count:     26
    .sgpr_spill_count: 0
    .symbol:         fft_rtc_fwd_len480_factors_10_8_6_wgs_64_tpt_16_halfLds_dp_ip_CI_unitstride_sbrr_C2R_dirReg.kd
    .uniform_work_group_size: 1
    .uses_dynamic_stack: false
    .vgpr_count:     239
    .vgpr_spill_count: 0
    .wavefront_size: 64
amdhsa.target:   amdgcn-amd-amdhsa--gfx906
amdhsa.version:
  - 1
  - 2
...

	.end_amdgpu_metadata
